;; amdgpu-corpus repo=ROCm/rccl kind=compiled arch=gfx906 opt=O3
	.amdgcn_target "amdgcn-amd-amdhsa--gfx906"
	.amdhsa_code_object_version 6
	.text
	.p2align	2                               ; -- Begin function _ZN12_GLOBAL__N_17runRingI14__hip_fp8_e4m313FuncPreMulSumIS1_E7ProtoLLLi0ELi1ELi0EEEviiP15ncclDevWorkColl
	.type	_ZN12_GLOBAL__N_17runRingI14__hip_fp8_e4m313FuncPreMulSumIS1_E7ProtoLLLi0ELi1ELi0EEEviiP15ncclDevWorkColl,@function
_ZN12_GLOBAL__N_17runRingI14__hip_fp8_e4m313FuncPreMulSumIS1_E7ProtoLLLi0ELi1ELi0EEEviiP15ncclDevWorkColl: ; @_ZN12_GLOBAL__N_17runRingI14__hip_fp8_e4m313FuncPreMulSumIS1_E7ProtoLLLi0ELi1ELi0EEEviiP15ncclDevWorkColl
; %bb.0:
	s_waitcnt vmcnt(0) expcnt(0) lgkmcnt(0)
	s_or_saveexec_b64 s[4:5], -1
	buffer_store_dword v63, off, s[0:3], s32 offset:252 ; 4-byte Folded Spill
	s_mov_b64 exec, s[4:5]
	buffer_store_dword v40, off, s[0:3], s32 offset:56 ; 4-byte Folded Spill
	buffer_store_dword v41, off, s[0:3], s32 offset:52 ; 4-byte Folded Spill
	;; [unrolled: 1-line block ×14, first 2 shown]
	buffer_store_dword v62, off, s[0:3], s32 ; 4-byte Folded Spill
	v_writelane_b32 v63, s34, 0
	v_writelane_b32 v63, s35, 1
	;; [unrolled: 1-line block ×9, first 2 shown]
	s_trap 2
	flat_load_dword v6, v[2:3]
	flat_load_dwordx4 v[24:27], v[2:3] offset:72
	flat_load_dwordx2 v[17:18], v[2:3] offset:88
	v_mov_b32_e32 v10, v0
	ds_read_b32 v4, v0
	s_waitcnt lgkmcnt(0)
	v_readfirstlane_b32 s20, v4
	s_waitcnt vmcnt(0)
	v_not_b32_sdwa v5, v6 dst_sel:DWORD dst_unused:UNUSED_PAD src0_sel:BYTE_0
	v_add_u32_sdwa v0, v6, v5 dst_sel:DWORD dst_unused:UNUSED_PAD src0_sel:BYTE_1 src1_sel:DWORD
	v_ashrrev_i32_e32 v7, 31, v0
	v_mul_lo_u32 v8, v27, v0
	v_mad_u64_u32 v[19:20], s[4:5], v26, v0, 0
	v_mul_lo_u32 v0, v26, v7
	v_cmp_ne_u32_sdwa s[4:5], v4, v6 src0_sel:DWORD src1_sel:BYTE_0
	ds_read_b64 v[60:61], v0
	v_add3_u32 v0, v20, v0, v8
                                        ; implicit-def: $vgpr20_vgpr21
                                        ; implicit-def: $vgpr7_vgpr8
                                        ; kill: killed $vgpr7_vgpr8
	s_and_saveexec_b64 s[6:7], s[4:5]
	s_xor_b64 s[4:5], exec, s[6:7]
	s_cbranch_execz .LBB0_6
; %bb.1:
	v_cmp_ne_u32_sdwa s[6:7], v4, v6 src0_sel:DWORD src1_sel:BYTE_1
                                        ; implicit-def: $vgpr20_vgpr21
                                        ; implicit-def: $vgpr6_vgpr7
                                        ; kill: killed $vgpr6_vgpr7
	s_and_saveexec_b64 s[10:11], s[6:7]
	s_xor_b64 s[6:7], exec, s[10:11]
	s_cbranch_execz .LBB0_3
; %bb.2:
	flat_load_dwordx2 v[6:7], v[2:3] offset:96
	v_add_u32_e32 v4, v4, v5
	v_ashrrev_i32_e32 v5, 31, v4
	v_mul_lo_u32 v5, v26, v5
	v_mul_lo_u32 v8, v27, v4
	v_mad_u64_u32 v[11:12], s[10:11], v26, v4, v[24:25]
	v_add3_u32 v12, v8, v12, v5
	buffer_store_dword v11, off, s[0:3], s32 offset:140 ; 4-byte Folded Spill
	s_nop 0
	buffer_store_dword v12, off, s[0:3], s32 offset:144 ; 4-byte Folded Spill
	s_waitcnt vmcnt(0) lgkmcnt(0)
	v_lshrrev_b64 v[20:21], 17, v[6:7]
.LBB0_3:
	s_andn2_saveexec_b64 s[6:7], s[6:7]
	s_cbranch_execz .LBB0_5
; %bb.4:
	flat_load_dword v4, v[2:3] offset:100
	v_add_co_u32_e32 v5, vcc, v19, v24
	v_mov_b32_e32 v27, v18
	v_addc_co_u32_e32 v6, vcc, v0, v25, vcc
	v_mov_b32_e32 v26, v17
	buffer_store_dword v5, off, s[0:3], s32 offset:140 ; 4-byte Folded Spill
	s_nop 0
	buffer_store_dword v6, off, s[0:3], s32 offset:144 ; 4-byte Folded Spill
	s_waitcnt vmcnt(0) lgkmcnt(0)
	v_lshrrev_b32_e32 v20, 6, v4
.LBB0_5:
	s_or_b64 exec, exec, s[6:7]
.LBB0_6:
	s_andn2_saveexec_b64 s[4:5], s[4:5]
	s_cbranch_execz .LBB0_8
; %bb.7:
	flat_load_dwordx2 v[4:5], v[2:3] offset:96
	v_mov_b32_e32 v27, v25
	v_mov_b32_e32 v26, v24
	s_waitcnt vmcnt(0) lgkmcnt(0)
	v_lshlrev_b64 v[20:21], 4, v[4:5]
	v_mov_b32_e32 v4, 0
	v_mov_b32_e32 v5, 0
	buffer_store_dword v4, off, s[0:3], s32 offset:140 ; 4-byte Folded Spill
	s_nop 0
	buffer_store_dword v5, off, s[0:3], s32 offset:144 ; 4-byte Folded Spill
.LBB0_8:
	s_or_b64 exec, exec, s[4:5]
	flat_load_dwordx4 v[4:7], v[2:3] offset:16
	s_mov_b32 s13, 0
	v_mov_b32_e32 v62, 0
	s_waitcnt vmcnt(0) lgkmcnt(0)
	buffer_store_dword v4, off, s[0:3], s32 offset:188 ; 4-byte Folded Spill
	s_nop 0
	buffer_store_dword v5, off, s[0:3], s32 offset:192 ; 4-byte Folded Spill
	buffer_store_dword v6, off, s[0:3], s32 offset:196 ; 4-byte Folded Spill
	;; [unrolled: 1-line block ×3, first 2 shown]
	flat_load_dwordx2 v[15:16], v[2:3] offset:104
	flat_load_ushort v14, v[2:3] offset:8
	flat_load_dword v13, v[2:3] offset:4
	v_mov_b32_e32 v2, 0
	s_waitcnt vmcnt(0) lgkmcnt(0)
	v_cmp_ne_u16_sdwa s[6:7], v15, v2 src0_sel:BYTE_0 src1_sel:DWORD
	s_and_saveexec_b64 s[4:5], s[6:7]
	s_cbranch_execz .LBB0_14
; %bb.9:
	s_movk_i32 s6, 0x80
	v_cmp_ne_u16_sdwa s[10:11], v15, s6 src0_sel:BYTE_0 src1_sel:DWORD
	v_bfrev_b32_e32 v62, 1
	s_and_saveexec_b64 s[6:7], s[10:11]
	s_cbranch_execz .LBB0_13
; %bb.10:
	s_movk_i32 s10, 0x7f
	v_and_b32_e32 v3, 0x7f, v15
	v_cmp_ne_u32_e32 vcc, s10, v3
	v_mov_b32_e32 v62, 0x7f800001
	s_and_saveexec_b64 s[10:11], vcc
	s_cbranch_execz .LBB0_12
; %bb.11:
	v_and_b32_e32 v4, 7, v15
	v_ffbh_u32_e32 v4, v4
	v_min_u32_e32 v4, 32, v4
	v_subrev_u32_e32 v6, 28, v4
	v_cmp_gt_u32_e32 vcc, 8, v3
	v_lshrrev_b32_e32 v5, 3, v3
	v_sub_u32_e32 v4, 29, v4
	v_cndmask_b32_e32 v3, 0, v6, vcc
	v_cndmask_b32_e32 v5, v5, v4, vcc
	v_lshlrev_b64 v[3:4], v3, v[15:16]
	v_lshlrev_b32_e32 v4, 24, v15
	v_lshlrev_b32_e32 v3, 20, v3
	v_bfrev_b32_e32 v6, 60
	v_and_b32_e32 v3, 0x700000, v3
	v_and_b32_e32 v4, 0x80000000, v4
	v_lshl_add_u32 v5, v5, 23, v6
	v_or3_b32 v62, v4, v5, v3
.LBB0_12:
	s_or_b64 exec, exec, s[10:11]
.LBB0_13:
	s_or_b64 exec, exec, s[6:7]
.LBB0_14:
	s_or_b64 exec, exec, s[4:5]
	s_load_dword s4, s[8:9], 0x0
	v_lshrrev_b64 v[3:4], 31, v[13:14]
	v_and_b32_e32 v4, 63, v10
	v_mov_b32_e32 v8, 0
	v_and_b32_e32 v5, 3, v3
	s_waitcnt lgkmcnt(0)
	s_cmp_lt_u32 s12, s4
	s_cselect_b32 s4, 12, 18
	s_add_u32 s4, s8, s4
	s_addc_u32 s5, s9, 0
	global_load_ushort v11, v2, s[4:5]
	s_trap 2
	ds_read_b32 v2, v0
	v_mov_b32_e32 v9, 0
	v_cmp_eq_u32_e64 s[4:5], 0, v4
	s_waitcnt lgkmcnt(0)
	v_cmp_gt_i32_e32 vcc, 0, v2
	v_readfirstlane_b32 s8, v2
	s_cbranch_vccnz .LBB0_16
; %bb.15:
	s_trap 2
	ds_read_b64 v[6:7], v0
	v_mov_b32_e32 v3, 0
	v_lshlrev_b64 v[2:3], 3, v[2:3]
	s_movk_i32 s6, 0xa8
	s_mov_b32 s13, 1
	s_waitcnt lgkmcnt(0)
	v_add_co_u32_e32 v2, vcc, v6, v2
	v_addc_co_u32_e32 v3, vcc, v7, v3, vcc
	flat_load_dwordx2 v[2:3], v[2:3]
	v_and_b32_e32 v6, 0xffff, v5
	s_waitcnt vmcnt(0) lgkmcnt(0)
	v_mad_u64_u32 v[2:3], s[6:7], v6, s6, v[2:3]
	flat_load_dwordx2 v[6:7], v[2:3] offset:504
	v_add_co_u32_e32 v28, vcc, 0x1f8, v2
	v_addc_co_u32_e32 v29, vcc, 0, v3, vcc
	s_waitcnt vmcnt(0) lgkmcnt(0)
	buffer_store_dword v6, off, s[0:3], s32 offset:96 ; 4-byte Folded Spill
	s_nop 0
	buffer_store_dword v7, off, s[0:3], s32 offset:100 ; 4-byte Folded Spill
	flat_load_dwordx2 v[34:35], v[2:3] offset:608
	v_cndmask_b32_e64 v3, 0, v29, s[4:5]
	v_cndmask_b32_e64 v2, 0, v28, s[4:5]
	s_branch .LBB0_17
.LBB0_16:
	v_mov_b32_e32 v28, 0
	v_mov_b32_e32 v2, 0
	;; [unrolled: 1-line block ×4, first 2 shown]
                                        ; implicit-def: $vgpr34_vgpr35
                                        ; implicit-def: $vgpr6_vgpr7
                                        ; kill: killed $vgpr6_vgpr7
.LBB0_17:
	s_trap 2
	ds_read_b32 v13, v0
	s_waitcnt lgkmcnt(0)
	v_cmp_gt_i32_e32 vcc, 0, v13
	s_cbranch_vccnz .LBB0_19
; %bb.18:
	s_trap 2
	ds_read_b64 v[6:7], v0
	v_mov_b32_e32 v14, 0
	v_lshlrev_b64 v[8:9], 3, v[13:14]
	v_and_b32_e32 v5, 0xffff, v5
	s_movk_i32 s4, 0xa8
	s_waitcnt lgkmcnt(0)
	v_add_co_u32_e32 v6, vcc, v6, v8
	v_addc_co_u32_e32 v7, vcc, v7, v9, vcc
	flat_load_dwordx2 v[6:7], v[6:7]
	v_cmp_eq_u32_e32 vcc, 0, v4
	s_waitcnt vmcnt(0) lgkmcnt(0)
	v_mad_u64_u32 v[8:9], s[4:5], v5, s4, v[6:7]
	flat_load_dwordx2 v[5:6], v[8:9]
	v_cndmask_b32_e32 v16, 0, v9, vcc
	v_cndmask_b32_e32 v15, 0, v8, vcc
	s_waitcnt vmcnt(0) lgkmcnt(0)
	buffer_store_dword v5, off, s[0:3], s32 offset:68 ; 4-byte Folded Spill
	s_nop 0
	buffer_store_dword v6, off, s[0:3], s32 offset:72 ; 4-byte Folded Spill
	flat_load_dwordx2 v[21:22], v[8:9] offset:104
	s_branch .LBB0_20
.LBB0_19:
	v_mov_b32_e32 v15, 0
	v_mov_b32_e32 v16, 0
                                        ; implicit-def: $vgpr21_vgpr22
                                        ; implicit-def: $vgpr5_vgpr6
                                        ; kill: killed $vgpr5_vgpr6
.LBB0_20:
	v_subrev_u32_e32 v5, 64, v1
	v_cmp_ge_i32_e32 vcc, v10, v5
	v_cmp_gt_u32_e64 s[4:5], s13, v4
	v_mov_b32_e32 v13, 0
	v_mov_b32_e32 v4, 0
	;; [unrolled: 1-line block ×4, first 2 shown]
	s_and_b64 s[22:23], vcc, s[4:5]
	buffer_store_dword v4, off, s[0:3], s32 offset:88 ; 4-byte Folded Spill
	s_nop 0
	buffer_store_dword v5, off, s[0:3], s32 offset:92 ; 4-byte Folded Spill
                                        ; implicit-def: $vgpr38_vgpr39
	s_and_saveexec_b64 s[4:5], s[22:23]
	s_cbranch_execz .LBB0_22
; %bb.21:
	flat_load_dwordx2 v[4:5], v[2:3] offset:56
	s_waitcnt vmcnt(0) lgkmcnt(0)
	buffer_store_dword v4, off, s[0:3], s32 offset:88 ; 4-byte Folded Spill
	s_nop 0
	buffer_store_dword v5, off, s[0:3], s32 offset:92 ; 4-byte Folded Spill
	flat_load_dwordx2 v[38:39], v[2:3] offset:104
.LBB0_22:
	s_or_b64 exec, exec, s[4:5]
	v_mov_b32_e32 v50, 0
	v_mov_b32_e32 v51, 0
	v_cmp_gt_u32_e64 s[4:5], s13, v10
                                        ; implicit-def: $vgpr52_vgpr53
	s_and_saveexec_b64 s[6:7], s[4:5]
	s_cbranch_execz .LBB0_24
; %bb.23:
	flat_load_dwordx2 v[50:51], v[15:16] offset:56
	s_waitcnt vmcnt(0) lgkmcnt(0)
	flat_load_dwordx2 v[52:53], v[50:51] glc
	s_waitcnt vmcnt(0)
	flat_load_dwordx4 v[13:16], v[15:16] offset:96
.LBB0_24:
	s_or_b64 exec, exec, s[6:7]
	v_mov_b32_e32 v2, 0
	v_cmp_ne_u64_e32 vcc, 0, v[26:27]
	v_mov_b32_e32 v3, 0
	s_and_saveexec_b64 s[24:25], vcc
	s_cbranch_execnz .LBB0_28
; %bb.25:
	s_or_b64 exec, exec, s[24:25]
	s_and_saveexec_b64 s[6:7], s[22:23]
	s_cbranch_execnz .LBB0_1195
.LBB0_26:
	s_or_b64 exec, exec, s[6:7]
	s_and_saveexec_b64 s[6:7], s[4:5]
	s_cbranch_execnz .LBB0_1196
.LBB0_27:
	s_or_b64 exec, exec, s[6:7]
	v_cmp_ne_u32_e32 vcc, 64, v1
	s_and_saveexec_b64 s[4:5], vcc
	s_cbranch_execnz .LBB0_1197
	s_branch .LBB0_1214
.LBB0_28:
	v_add_co_u32_e32 v2, vcc, v17, v24
	s_ashr_i32 s6, s8, 31
	v_addc_co_u32_e32 v3, vcc, v18, v25, vcc
	s_lshr_b32 s6, s6, 29
	v_add_co_u32_e32 v2, vcc, v2, v19
	s_ashr_i32 s21, s20, 31
	s_add_i32 s8, s8, s6
	v_addc_co_u32_e32 v0, vcc, v3, v0, vcc
	s_lshl_b64 s[6:7], s[20:21], 2
	buffer_store_dword v28, off, s[0:3], s32 offset:244 ; 4-byte Folded Spill
	s_nop 0
	buffer_store_dword v29, off, s[0:3], s32 offset:248 ; 4-byte Folded Spill
	buffer_store_dword v8, off, s[0:3], s32 offset:236 ; 4-byte Folded Spill
	s_nop 0
	buffer_store_dword v9, off, s[0:3], s32 offset:240 ; 4-byte Folded Spill
	buffer_store_dword v2, off, s[0:3], s32 offset:80 ; 4-byte Folded Spill
	;; [unrolled: 1-line block ×3, first 2 shown]
	v_mov_b32_e32 v0, s7
	v_add_co_u32_e32 v2, vcc, s6, v60
	v_addc_co_u32_e32 v0, vcc, v61, v0, vcc
	v_add_co_u32_e32 v2, vcc, -4, v2
	v_addc_co_u32_e32 v3, vcc, -1, v0, vcc
	v_and_b32_e32 v0, 63, v31
	v_cmp_eq_u32_e64 s[12:13], 0, v0
	v_lshrrev_b32_e32 v0, 6, v1
	buffer_store_dword v2, off, s[0:3], s32 offset:172 ; 4-byte Folded Spill
	s_nop 0
	buffer_store_dword v3, off, s[0:3], s32 offset:176 ; 4-byte Folded Spill
	s_waitcnt vmcnt(0)
	buffer_store_dword v11, off, s[0:3], s32 offset:232 ; 4-byte Folded Spill
	buffer_store_dword v31, off, s[0:3], s32 offset:228 ; 4-byte Folded Spill
	;; [unrolled: 1-line block ×3, first 2 shown]
	buffer_load_dword v2, off, s[0:3], s32 offset:188 ; 4-byte Folded Reload
	buffer_load_dword v3, off, s[0:3], s32 offset:192 ; 4-byte Folded Reload
	buffer_load_dword v4, off, s[0:3], s32 offset:196 ; 4-byte Folded Reload
	buffer_load_dword v5, off, s[0:3], s32 offset:200 ; 4-byte Folded Reload
	v_lshlrev_b32_e32 v8, 3, v10
	s_ashr_i32 s10, s8, 3
	s_and_b32 s21, s10, -16
	v_cmp_ne_u32_e64 s[10:11], 64, v1
	v_cmp_ne_u32_sdwa s[40:41], v1, v11 src0_sel:DWORD src1_sel:WORD_0
	v_lshlrev_b32_e32 v25, 3, v1
	v_mov_b32_e32 v41, 0
	v_mov_b32_e32 v11, v41
	s_ashr_i32 s34, s8, 7
	v_cmp_ne_u64_e64 s[6:7], 0, v[50:51]
	s_waitcnt lgkmcnt(0)
	v_cmp_ne_u64_e64 s[8:9], 0, v[13:14]
	s_cmp_gt_i32 s20, 2
	v_mov_b32_e32 v36, 0
	v_and_b32_e32 v28, 0x1fffff0, v20
	s_mov_b32 s27, 0
	v_mov_b32_e32 v29, v41
	s_mov_b64 s[28:29], 0
	s_cselect_b64 s[42:43], -1, 0
	v_mov_b32_e32 v37, 0
	s_mov_b64 s[44:45], 0x7ffffff8
	s_movk_i32 s35, 0xff
	s_movk_i32 s36, 0x80
	;; [unrolled: 1-line block ×3, first 2 shown]
	s_mov_b64 s[46:47], 0x7f800000
	s_mov_b64 s[56:57], 0x43e00001
	s_movk_i32 s38, 0x7a
	s_mov_b64 s[58:59], 0xffffff
	s_mov_b32 s39, 0xffffff
	v_mov_b32_e32 v54, 0xffffff82
	v_mov_b32_e32 v55, 24
	;; [unrolled: 1-line block ×3, first 2 shown]
	s_waitcnt vmcnt(1)
	v_add_co_u32_e32 v0, vcc, v4, v8
	buffer_store_dword v0, off, s[0:3], s32 offset:204 ; 4-byte Folded Spill
	s_waitcnt vmcnt(1)
	v_addc_co_u32_e32 v0, vcc, 0, v5, vcc
	buffer_store_dword v0, off, s[0:3], s32 offset:208 ; 4-byte Folded Spill
	v_add_co_u32_e32 v0, vcc, v2, v8
	buffer_load_dword v6, off, s[0:3], s32 offset:88 ; 4-byte Folded Reload
	buffer_load_dword v7, off, s[0:3], s32 offset:92 ; 4-byte Folded Reload
	s_waitcnt vmcnt(0)
	v_cmp_ne_u64_e64 s[14:15], 0, v[6:7]
	buffer_store_dword v0, off, s[0:3], s32 offset:212 ; 4-byte Folded Spill
	v_addc_co_u32_e32 v0, vcc, 0, v3, vcc
	buffer_store_dword v0, off, s[0:3], s32 offset:216 ; 4-byte Folded Spill
	buffer_load_dword v2, off, s[0:3], s32 offset:140 ; 4-byte Folded Reload
	buffer_load_dword v3, off, s[0:3], s32 offset:144 ; 4-byte Folded Reload
	v_bfrev_b32_e32 v7, 60
	buffer_store_dword v8, off, s[0:3], s32 offset:136 ; 4-byte Folded Spill
	s_waitcnt vmcnt(2)
	v_add_co_u32_e32 v0, vcc, v2, v4
	s_waitcnt vmcnt(1)
	v_addc_co_u32_e32 v2, vcc, v3, v5, vcc
	v_add_co_u32_e32 v3, vcc, v0, v8
	v_addc_co_u32_e32 v4, vcc, 0, v2, vcc
	v_lshlrev_b32_e32 v0, 6, v1
	buffer_store_dword v3, off, s[0:3], s32 offset:120 ; 4-byte Folded Spill
	s_nop 0
	buffer_store_dword v4, off, s[0:3], s32 offset:124 ; 4-byte Folded Spill
	buffer_store_dword v0, off, s[0:3], s32 offset:76 ; 4-byte Folded Spill
	v_mov_b32_e32 v0, v10
	buffer_store_dword v0, off, s[0:3], s32 offset:60 ; 4-byte Folded Spill
	s_nop 0
	buffer_store_dword v1, off, s[0:3], s32 offset:64 ; 4-byte Folded Spill
	buffer_load_dword v4, off, s[0:3], s32 offset:68 ; 4-byte Folded Reload
	buffer_load_dword v5, off, s[0:3], s32 offset:72 ; 4-byte Folded Reload
	v_lshlrev_b64 v[2:3], 4, v[10:11]
	v_mov_b32_e32 v9, v26
	v_mov_b32_e32 v8, 0x78
	;; [unrolled: 1-line block ×3, first 2 shown]
	s_waitcnt vmcnt(1)
	v_add_co_u32_e32 v0, vcc, v4, v2
	v_mov_b32_e32 v2, v41
	buffer_store_dword v0, off, s[0:3], s32 offset:220 ; 4-byte Folded Spill
	s_waitcnt vmcnt(1)
	v_addc_co_u32_e32 v0, vcc, v5, v3, vcc
	v_lshlrev_b64 v[5:6], 4, v[1:2]
	v_mov_b32_e32 v2, 0
	v_mov_b32_e32 v3, 0
	buffer_store_dword v0, off, s[0:3], s32 offset:224 ; 4-byte Folded Spill
	buffer_store_dword v7, off, s[0:3], s32 offset:148 ; 4-byte Folded Spill
	s_nop 0
	buffer_store_dword v8, off, s[0:3], s32 offset:152 ; 4-byte Folded Spill
	buffer_store_dword v9, off, s[0:3], s32 offset:156 ; 4-byte Folded Spill
	;; [unrolled: 1-line block ×4, first 2 shown]
	s_nop 0
	buffer_store_dword v29, off, s[0:3], s32 offset:168 ; 4-byte Folded Spill
	s_branch .LBB0_30
.LBB0_29:                               ;   in Loop: Header=BB0_30 Depth=1
	s_or_b64 exec, exec, s[16:17]
	buffer_load_dword v9, off, s[0:3], s32 offset:120 ; 4-byte Folded Reload
	buffer_load_dword v10, off, s[0:3], s32 offset:124 ; 4-byte Folded Reload
	v_add_co_u32_e32 v34, vcc, 1, v34
	v_addc_co_u32_e32 v35, vcc, 0, v35, vcc
	v_add_co_u32_e32 v36, vcc, v36, v28
	v_addc_co_u32_e32 v37, vcc, 0, v37, vcc
	s_waitcnt vmcnt(0)
	v_add_co_u32_e32 v9, vcc, v9, v28
	v_addc_co_u32_e32 v10, vcc, 0, v10, vcc
	v_cmp_ge_u64_e32 vcc, v[36:37], v[26:27]
	buffer_store_dword v9, off, s[0:3], s32 offset:120 ; 4-byte Folded Spill
	s_nop 0
	buffer_store_dword v10, off, s[0:3], s32 offset:124 ; 4-byte Folded Spill
	s_or_b64 s[28:29], vcc, s[28:29]
	s_andn2_b64 exec, exec, s[28:29]
	s_cbranch_execz .LBB0_1194
.LBB0_30:                               ; =>This Loop Header: Depth=1
                                        ;     Child Loop BB0_35 Depth 2
                                        ;     Child Loop BB0_54 Depth 2
	;; [unrolled: 1-line block ×5, first 2 shown]
                                        ;       Child Loop BB0_260 Depth 3
                                        ;       Child Loop BB0_279 Depth 3
	;; [unrolled: 1-line block ×3, first 2 shown]
                                        ;         Child Loop BB0_307 Depth 4
                                        ;       Child Loop BB0_723 Depth 3
                                        ;       Child Loop BB0_296 Depth 3
                                        ;     Child Loop BB0_738 Depth 2
                                        ;       Child Loop BB0_746 Depth 3
                                        ;     Child Loop BB0_1181 Depth 2
	buffer_load_dword v9, off, s[0:3], s32 offset:172 ; 4-byte Folded Reload
	buffer_load_dword v10, off, s[0:3], s32 offset:176 ; 4-byte Folded Reload
	s_waitcnt vmcnt(0) lgkmcnt(0)
	flat_load_dword v0, v[9:10]
	v_sub_co_u32_e32 v9, vcc, v26, v36
	v_subb_co_u32_e32 v10, vcc, v27, v37, vcc
	v_cmp_lt_u64_e32 vcc, v[28:29], v[9:10]
	v_cndmask_b32_e32 v4, v9, v28, vcc
	v_lshl_add_u32 v9, v4, 1, 14
	v_and_b32_e32 v9, 0x7fffff0, v9
	buffer_store_dword v9, off, s[0:3], s32 offset:112 ; 4-byte Folded Spill
	s_and_saveexec_b64 s[18:19], s[6:7]
	s_cbranch_execz .LBB0_46
; %bb.31:                               ;   in Loop: Header=BB0_30 Depth=1
	v_add_co_u32_e32 v17, vcc, 1, v15
	v_addc_co_u32_e32 v18, vcc, 0, v16, vcc
	v_add_co_u32_e32 v9, vcc, 8, v52
	v_addc_co_u32_e32 v10, vcc, 0, v53, vcc
	v_cmp_lt_u64_e32 vcc, v[9:10], v[17:18]
	s_and_saveexec_b64 s[60:61], vcc
	s_cbranch_execz .LBB0_43
; %bb.32:                               ;   in Loop: Header=BB0_30 Depth=1
	s_mov_b32 s26, 0
	v_cmp_eq_u32_e32 vcc, 0, v12
	s_mov_b64 s[62:63], 0
                                        ; implicit-def: $sgpr72_sgpr73
                                        ; implicit-def: $sgpr74_sgpr75
                                        ; implicit-def: $sgpr76_sgpr77
	s_branch .LBB0_35
.LBB0_33:                               ;   in Loop: Header=BB0_35 Depth=2
	s_or_b64 exec, exec, s[94:95]
	s_andn2_b64 s[16:17], s[76:77], exec
	s_and_b64 s[76:77], s[90:91], exec
	s_or_b64 s[76:77], s[16:17], s[76:77]
	s_andn2_b64 s[16:17], s[74:75], exec
	s_and_b64 s[74:75], s[88:89], exec
	s_or_b64 s[74:75], s[16:17], s[74:75]
.LBB0_34:                               ;   in Loop: Header=BB0_35 Depth=2
	s_or_b64 exec, exec, s[78:79]
	s_and_b64 s[16:17], exec, s[74:75]
	s_or_b64 s[62:63], s[16:17], s[62:63]
	s_andn2_b64 s[16:17], s[72:73], exec
	s_and_b64 s[72:73], s[76:77], exec
	s_or_b64 s[72:73], s[16:17], s[72:73]
	s_andn2_b64 exec, exec, s[62:63]
	s_cbranch_execz .LBB0_40
.LBB0_35:                               ;   Parent Loop BB0_30 Depth=1
                                        ; =>  This Inner Loop Header: Depth=2
	s_sleep 1
	s_waitcnt vmcnt(0) lgkmcnt(0)
	flat_load_dwordx2 v[52:53], v[50:51] glc
	v_mov_b32_e32 v12, 1
	s_or_b64 s[76:77], s[76:77], exec
	s_or_b64 s[74:75], s[74:75], exec
                                        ; implicit-def: $vgpr9
	s_and_saveexec_b64 s[78:79], vcc
	s_cbranch_execz .LBB0_34
; %bb.36:                               ;   in Loop: Header=BB0_35 Depth=2
	s_add_i32 s26, s26, 1
	s_cmpk_lg_i32 s26, 0x2710
	s_cselect_b64 s[92:93], -1, 0
	s_cmpk_eq_i32 s26, 0x2710
	s_mov_b64 s[88:89], -1
	s_mov_b64 s[90:91], -1
                                        ; implicit-def: $vgpr9
	s_cbranch_scc1 .LBB0_38
; %bb.37:                               ;   in Loop: Header=BB0_35 Depth=2
	v_mov_b32_e32 v12, 1
	s_and_saveexec_b64 s[94:95], s[92:93]
	s_cbranch_execz .LBB0_33
	s_branch .LBB0_39
.LBB0_38:                               ;   in Loop: Header=BB0_35 Depth=2
	s_trap 2
	s_waitcnt vmcnt(0) lgkmcnt(0)
	ds_read_b64 v[9:10], v0
	s_andn2_b64 s[92:93], s[92:93], exec
	s_mov_b32 s26, 0
	s_mov_b64 s[90:91], 0
	s_waitcnt lgkmcnt(0)
	flat_load_dword v9, v[9:10] glc
	s_waitcnt vmcnt(0) lgkmcnt(0)
	buffer_wbinvl1_vol
	v_cmp_eq_u32_e64 s[16:17], 0, v9
	s_and_b64 s[16:17], s[16:17], exec
	s_or_b64 s[92:93], s[92:93], s[16:17]
	v_mov_b32_e32 v12, 1
	s_and_saveexec_b64 s[94:95], s[92:93]
	s_cbranch_execz .LBB0_33
.LBB0_39:                               ;   in Loop: Header=BB0_35 Depth=2
	s_waitcnt vmcnt(0) lgkmcnt(0)
	v_add_co_u32_e64 v10, s[16:17], 8, v52
	v_addc_co_u32_e64 v11, s[16:17], 0, v53, s[16:17]
	v_cmp_ge_u64_e64 s[16:17], v[10:11], v[17:18]
	v_mov_b32_e32 v12, 0
	s_or_b64 s[90:91], s[90:91], exec
	s_orn2_b64 s[88:89], s[16:17], exec
	s_branch .LBB0_33
.LBB0_40:                               ;   in Loop: Header=BB0_30 Depth=1
	s_or_b64 exec, exec, s[62:63]
	s_xor_b64 s[16:17], s[72:73], -1
	s_and_saveexec_b64 s[62:63], s[16:17]
	s_xor_b64 s[16:17], exec, s[62:63]
	s_cbranch_execz .LBB0_42
; %bb.41:                               ;   in Loop: Header=BB0_30 Depth=1
	v_mov_b32_e32 v12, 1
	s_waitcnt vmcnt(0) lgkmcnt(0)
	ds_write_b32 v0, v9
	s_trap 2
.LBB0_42:                               ;   in Loop: Header=BB0_30 Depth=1
	s_or_b64 exec, exec, s[16:17]
.LBB0_43:                               ;   in Loop: Header=BB0_30 Depth=1
	s_or_b64 exec, exec, s[60:61]
	s_and_saveexec_b64 s[16:17], s[8:9]
	s_cbranch_execz .LBB0_45
; %bb.44:                               ;   in Loop: Header=BB0_30 Depth=1
	v_and_b32_e32 v40, 0x7ffffff8, v15
	v_and_b32_e32 v9, 7, v15
	buffer_load_dword v15, off, s[0:3], s32 offset:112 ; 4-byte Folded Reload
	v_mad_u64_u32 v[9:10], s[60:61], v9, 24, v[13:14]
	v_cmp_eq_u64_e32 vcc, s[44:45], v[40:41]
	v_mov_b32_e32 v11, s21
	s_waitcnt vmcnt(0)
	v_cndmask_b32_e32 v15, v15, v11, vcc
	v_ashrrev_i32_e32 v16, 31, v15
	flat_store_dwordx2 v[9:10], v[15:16] offset:8
	s_waitcnt vmcnt(0)
.LBB0_45:                               ;   in Loop: Header=BB0_30 Depth=1
	s_or_b64 exec, exec, s[16:17]
	v_mov_b32_e32 v15, v17
	v_mov_b32_e32 v16, v18
.LBB0_46:                               ;   in Loop: Header=BB0_30 Depth=1
	s_or_b64 exec, exec, s[18:19]
	s_and_saveexec_b64 s[16:17], s[10:11]
	s_cbranch_execz .LBB0_65
; %bb.47:                               ;   in Loop: Header=BB0_30 Depth=1
	s_and_saveexec_b64 s[18:19], s[40:41]
	s_xor_b64 s[18:19], exec, s[18:19]
	s_cbranch_execz .LBB0_62
; %bb.48:                               ;   in Loop: Header=BB0_30 Depth=1
	s_and_saveexec_b64 s[60:61], s[12:13]
	s_cbranch_execz .LBB0_61
; %bb.49:                               ;   in Loop: Header=BB0_30 Depth=1
	s_mov_b64 s[72:73], exec
	v_mbcnt_lo_u32_b32 v9, s72, 0
	v_mbcnt_hi_u32_b32 v9, s73, v9
	v_cmp_eq_u32_e32 vcc, 0, v9
	s_waitcnt vmcnt(0) lgkmcnt(0)
	buffer_wbinvl1_vol
	s_and_saveexec_b64 s[62:63], vcc
	s_cbranch_execz .LBB0_51
; %bb.50:                               ;   in Loop: Header=BB0_30 Depth=1
	s_bcnt1_i32_b64 s26, s[72:73]
	v_mov_b32_e32 v40, s26
	ds_add_u64 v0, v[40:41]
	s_trap 2
.LBB0_51:                               ;   in Loop: Header=BB0_30 Depth=1
	s_or_b64 exec, exec, s[62:63]
	s_trap 2
	ds_read_b64 v[9:10], v0
	s_waitcnt lgkmcnt(0)
	buffer_load_dword v11, off, s[0:3], s32 offset:116 ; 4-byte Folded Reload
	s_waitcnt vmcnt(0)
	v_add_co_u32_e32 v2, vcc, v2, v11
	v_addc_co_u32_e32 v3, vcc, 0, v3, vcc
	v_cmp_lt_u64_e32 vcc, v[9:10], v[2:3]
	s_and_saveexec_b64 s[62:63], vcc
	s_cbranch_execz .LBB0_60
; %bb.52:                               ;   in Loop: Header=BB0_30 Depth=1
	s_mov_b32 s26, 0
	s_mov_b64 s[72:73], 0
                                        ; implicit-def: $sgpr74_sgpr75
                                        ; implicit-def: $sgpr76_sgpr77
	s_branch .LBB0_54
.LBB0_53:                               ;   in Loop: Header=BB0_54 Depth=2
	s_or_b64 exec, exec, s[88:89]
	s_and_b64 s[78:79], exec, s[90:91]
	s_or_b64 s[72:73], s[78:79], s[72:73]
	s_andn2_b64 s[74:75], s[74:75], exec
	s_and_b64 s[78:79], s[76:77], exec
	s_or_b64 s[74:75], s[74:75], s[78:79]
	s_andn2_b64 exec, exec, s[72:73]
	s_cbranch_execz .LBB0_58
.LBB0_54:                               ;   Parent Loop BB0_30 Depth=1
                                        ; =>  This Inner Loop Header: Depth=2
	s_add_i32 s26, s26, 1
	s_cmpk_lg_i32 s26, 0x2710
	s_cselect_b64 s[78:79], -1, 0
	s_and_b64 vcc, exec, s[78:79]
	s_cbranch_vccz .LBB0_56
; %bb.55:                               ;   in Loop: Header=BB0_54 Depth=2
	s_mov_b64 s[90:91], -1
	s_or_b64 s[76:77], s[76:77], exec
	s_and_saveexec_b64 s[88:89], s[78:79]
	s_cbranch_execz .LBB0_53
	s_branch .LBB0_57
.LBB0_56:                               ;   in Loop: Header=BB0_54 Depth=2
	s_trap 2
	ds_read_b64 v[9:10], v0
	s_andn2_b64 s[78:79], s[78:79], exec
	s_mov_b32 s26, 0
	s_waitcnt lgkmcnt(0)
	flat_load_dword v9, v[9:10] glc
	s_waitcnt vmcnt(0) lgkmcnt(0)
	buffer_wbinvl1_vol
	v_cmp_eq_u32_e32 vcc, 0, v9
	s_and_b64 s[88:89], vcc, exec
	s_or_b64 s[78:79], s[78:79], s[88:89]
	s_mov_b64 s[90:91], -1
	s_or_b64 s[76:77], s[76:77], exec
	s_and_saveexec_b64 s[88:89], s[78:79]
	s_cbranch_execz .LBB0_53
.LBB0_57:                               ;   in Loop: Header=BB0_54 Depth=2
	s_sleep 1
	s_trap 2
	ds_read_b64 v[9:10], v0
	s_waitcnt lgkmcnt(0)
	s_andn2_b64 s[76:77], s[76:77], exec
	v_cmp_ge_u64_e32 vcc, v[9:10], v[2:3]
	s_orn2_b64 s[90:91], vcc, exec
	s_branch .LBB0_53
.LBB0_58:                               ;   in Loop: Header=BB0_30 Depth=1
	s_or_b64 exec, exec, s[72:73]
	s_and_saveexec_b64 s[72:73], s[74:75]
	s_xor_b64 s[72:73], exec, s[72:73]
	s_cbranch_execz .LBB0_60
; %bb.59:                               ;   in Loop: Header=BB0_30 Depth=1
	v_mov_b32_e32 v9, 1
	ds_write_b32 v0, v9
	s_trap 2
.LBB0_60:                               ;   in Loop: Header=BB0_30 Depth=1
	s_or_b64 exec, exec, s[62:63]
	;;#ASMSTART
	s_wakeup
	;;#ASMEND
.LBB0_61:                               ;   in Loop: Header=BB0_30 Depth=1
	s_or_b64 exec, exec, s[60:61]
.LBB0_62:                               ;   in Loop: Header=BB0_30 Depth=1
	s_andn2_saveexec_b64 s[18:19], s[18:19]
	s_cbranch_execz .LBB0_64
; %bb.63:                               ;   in Loop: Header=BB0_30 Depth=1
	s_waitcnt vmcnt(0) lgkmcnt(0)
	buffer_wbinvl1_vol
	s_barrier
.LBB0_64:                               ;   in Loop: Header=BB0_30 Depth=1
	s_or_b64 exec, exec, s[18:19]
.LBB0_65:                               ;   in Loop: Header=BB0_30 Depth=1
	s_or_b64 exec, exec, s[16:17]
	buffer_load_dword v9, off, s[0:3], s32 offset:136 ; 4-byte Folded Reload
	buffer_load_dword v29, off, s[0:3], s32 offset:60 ; 4-byte Folded Reload
	;; [unrolled: 1-line block ×3, first 2 shown]
	v_add_u32_e32 v18, 1, v21
	s_waitcnt vmcnt(0)
	v_sub_u32_e32 v48, v4, v9
	v_cmp_lt_i32_e64 s[16:17], 0, v48
	v_and_b32_e32 v9, 7, v21
	s_and_saveexec_b64 s[60:61], s[16:17]
	s_cbranch_execz .LBB0_249
; %bb.66:                               ;   in Loop: Header=BB0_30 Depth=1
	buffer_load_dword v11, off, s[0:3], s32 offset:80 ; 4-byte Folded Reload
	buffer_load_dword v23, off, s[0:3], s32 offset:120 ; 4-byte Folded Reload
	;; [unrolled: 1-line block ×4, first 2 shown]
	s_waitcnt lgkmcnt(0)
	v_ashrrev_i32_e32 v4, 31, v0
	v_mul_lo_u32 v19, v9, s34
	s_mov_b64 s[62:63], 0
	v_ashrrev_i32_e32 v20, 31, v19
	v_lshlrev_b64 v[19:20], 4, v[19:20]
	s_waitcnt vmcnt(3)
	v_mul_lo_u32 v4, v11, v4
	s_waitcnt vmcnt(1)
	v_mad_u64_u32 v[46:47], s[18:19], v11, v0, v[23:24]
	s_waitcnt vmcnt(0)
	v_mul_lo_u32 v10, v10, v0
	v_mul_lo_u32 v0, v11, v0
	v_mov_b32_e32 v11, v48
	v_add3_u32 v47, v10, v47, v4
	v_add_lshl_u32 v10, v23, v0, 3
	buffer_load_dword v0, off, s[0:3], s32 offset:220 ; 4-byte Folded Reload
	s_waitcnt vmcnt(0)
	v_add_co_u32_e32 v56, vcc, v0, v19
	buffer_load_dword v0, off, s[0:3], s32 offset:224 ; 4-byte Folded Reload
	buffer_load_dword v29, off, s[0:3], s32 offset:60 ; 4-byte Folded Reload
	;; [unrolled: 1-line block ×3, first 2 shown]
	s_waitcnt vmcnt(2)
	v_addc_co_u32_e32 v57, vcc, v0, v20, vcc
	s_branch .LBB0_68
.LBB0_67:                               ;   in Loop: Header=BB0_68 Depth=2
	s_or_b64 exec, exec, s[18:19]
	v_lshlrev_b32_e32 v0, 8, v26
	v_lshlrev_b32_e32 v20, 16, v30
	v_or3_b32 v0, v0, v17, v20
	v_lshlrev_b32_e32 v4, 24, v4
	v_lshlrev_b32_e32 v17, 8, v32
	;; [unrolled: 1-line block ×3, first 2 shown]
	v_or3_b32 v20, v17, v31, v20
	v_or3_b32 v17, v0, v4, 0
	buffer_load_dword v0, off, s[0:3], s32 offset:76 ; 4-byte Folded Reload
	v_add_co_u32_e32 v46, vcc, v46, v25
	v_lshlrev_b32_e32 v19, 24, v19
	v_sub_u32_e32 v11, v11, v25
	v_addc_co_u32_e32 v47, vcc, 0, v47, vcc
	v_or3_b32 v19, v20, v19, 0
	v_mov_b32_e32 v20, v18
	v_cmp_gt_i32_e32 vcc, 1, v11
	global_store_dwordx4 v[56:57], v[17:20], off
	s_or_b64 s[62:63], vcc, s[62:63]
	v_add_co_u32_e32 v56, vcc, v56, v5
	v_add_u32_e32 v29, v29, v1
	v_addc_co_u32_e32 v57, vcc, v57, v6, vcc
	s_waitcnt vmcnt(1)
	v_add_u32_e32 v10, v10, v0
	s_andn2_b64 exec, exec, s[62:63]
	s_cbranch_execz .LBB0_248
.LBB0_68:                               ;   Parent Loop BB0_30 Depth=1
                                        ; =>  This Inner Loop Header: Depth=2
	v_and_b32_e32 v19, -4, v46
	v_mov_b32_e32 v20, v47
	global_load_dword v0, v[19:20], off glc slc
	v_min_u32_e32 v4, 8, v11
	v_and_b32_e32 v17, 3, v46
	v_add_u32_e32 v40, v17, v4
	v_cmp_lt_u32_e32 vcc, 4, v40
	v_mov_b32_e32 v31, 0
	v_mov_b32_e32 v32, 0
	s_and_saveexec_b64 s[18:19], vcc
	s_cbranch_execz .LBB0_70
; %bb.69:                               ;   in Loop: Header=BB0_68 Depth=2
	global_load_dword v32, v[19:20], off offset:4 glc slc
.LBB0_70:                               ;   in Loop: Header=BB0_68 Depth=2
	s_or_b64 exec, exec, s[18:19]
	v_cmp_lt_u64_e32 vcc, 8, v[40:41]
	s_and_saveexec_b64 s[18:19], vcc
	s_cbranch_execz .LBB0_72
; %bb.71:                               ;   in Loop: Header=BB0_68 Depth=2
	global_load_dword v31, v[19:20], off offset:8 glc slc
.LBB0_72:                               ;   in Loop: Header=BB0_68 Depth=2
	s_or_b64 exec, exec, s[18:19]
	s_waitcnt vmcnt(0)
	v_alignbit_b32 v40, v32, v0, v10
	v_cmp_ne_u16_sdwa s[72:73], v40, v41 src0_sel:BYTE_0 src1_sel:DWORD
	v_mov_b32_e32 v0, 0
	s_and_saveexec_b64 s[18:19], s[72:73]
	s_cbranch_execz .LBB0_78
; %bb.73:                               ;   in Loop: Header=BB0_68 Depth=2
	v_cmp_ne_u16_sdwa s[74:75], v40, s36 src0_sel:BYTE_0 src1_sel:DWORD
	v_bfrev_b32_e32 v0, 1
	s_and_saveexec_b64 s[72:73], s[74:75]
	s_cbranch_execz .LBB0_77
; %bb.74:                               ;   in Loop: Header=BB0_68 Depth=2
	v_and_b32_e32 v4, 0x7f, v40
	v_cmp_ne_u32_e32 vcc, s37, v4
	v_mov_b32_e32 v0, 0x7f800001
	s_and_saveexec_b64 s[74:75], vcc
	s_cbranch_execz .LBB0_76
; %bb.75:                               ;   in Loop: Header=BB0_68 Depth=2
	v_and_b32_e32 v0, 7, v40
	v_ffbh_u32_e32 v0, v0
	v_min_u32_e32 v0, 32, v0
	v_lshrrev_b32_e32 v17, 3, v4
	v_cmp_gt_u32_e32 vcc, 8, v4
	v_subrev_u32_e32 v4, 28, v0
	v_cndmask_b32_e32 v4, 0, v4, vcc
	v_lshlrev_b64 v[19:20], v4, v[40:41]
	v_sub_u32_e32 v0, 29, v0
	v_cndmask_b32_e32 v0, v17, v0, vcc
	v_lshlrev_b32_e32 v4, 20, v19
	v_lshlrev_b32_e32 v17, 24, v40
	v_and_b32_e32 v4, 0x700000, v4
	v_and_b32_e32 v17, 0x80000000, v17
	v_lshl_add_u32 v0, v0, 23, v7
	v_or3_b32 v0, v17, v0, v4
.LBB0_76:                               ;   in Loop: Header=BB0_68 Depth=2
	s_or_b64 exec, exec, s[74:75]
.LBB0_77:                               ;   in Loop: Header=BB0_68 Depth=2
	s_or_b64 exec, exec, s[72:73]
.LBB0_78:                               ;   in Loop: Header=BB0_68 Depth=2
	s_or_b64 exec, exec, s[18:19]
	v_mul_f32_e32 v4, v62, v0
	v_and_b32_e32 v19, 0x7f800000, v4
	v_mov_b32_e32 v20, v41
	v_cmp_ne_u64_e32 vcc, s[46:47], v[19:20]
                                        ; implicit-def: $vgpr17
	s_and_saveexec_b64 s[18:19], vcc
	s_xor_b64 s[72:73], exec, s[18:19]
	s_cbranch_execz .LBB0_92
; %bb.79:                               ;   in Loop: Header=BB0_68 Depth=2
	v_and_b32_e32 v19, 0x7fffffff, v4
	v_mov_b32_e32 v20, v41
	v_cmp_gt_u64_e32 vcc, s[56:57], v[19:20]
	v_and_b32_sdwa v0, v4, s36 dst_sel:DWORD dst_unused:UNUSED_PAD src0_sel:BYTE_3 src1_sel:DWORD
                                        ; implicit-def: $vgpr17
	s_and_saveexec_b64 s[18:19], vcc
	s_xor_b64 s[74:75], exec, s[18:19]
	s_cbranch_execz .LBB0_89
; %bb.80:                               ;   in Loop: Header=BB0_68 Depth=2
	v_mov_b32_e32 v17, 0
	v_cmp_ne_u32_e32 vcc, 0, v4
	s_and_saveexec_b64 s[76:77], vcc
	s_cbranch_execz .LBB0_88
; %bb.81:                               ;   in Loop: Header=BB0_68 Depth=2
	v_and_b32_e32 v19, 0x7fffff, v4
	v_bfe_u32 v4, v4, 23, 8
	v_cmp_gt_u32_e64 s[18:19], s38, v4
	v_sub_u32_e32 v17, 0x79, v4
	v_cmp_eq_u32_e32 vcc, 0, v4
	v_cndmask_b32_e64 v17, 0, v17, s[18:19]
	v_cndmask_b32_e32 v17, v17, v8, vcc
	v_add_u32_e32 v23, 20, v17
	v_or_b32_e32 v20, 0x800000, v19
	v_lshlrev_b64 v[23:24], v23, -1
	v_cndmask_b32_e32 v19, v20, v19, vcc
	v_mov_b32_e32 v20, v41
	v_add_u32_e32 v26, 19, v17
	v_bfi_b32 v23, v23, 0, v19
	v_lshlrev_b64 v[26:27], v26, 1
	v_lshrrev_b64 v[19:20], v17, v[19:20]
	v_bfi_b32 v24, v24, 0, 0
	v_cmp_eq_u64_e64 s[18:19], v[23:24], v[26:27]
	v_mov_b32_e32 v28, v20
	v_mov_b32_e32 v27, v19
	s_and_saveexec_b64 s[78:79], s[18:19]
; %bb.82:                               ;   in Loop: Header=BB0_68 Depth=2
	v_bfe_u32 v20, v19, 20, 1
	v_add_co_u32_e64 v20, s[18:19], v19, v20
	v_add_co_u32_e64 v27, s[18:19], -1, v20
; %bb.83:                               ;   in Loop: Header=BB0_68 Depth=2
	s_or_b64 exec, exec, s[78:79]
	v_add_u32_e32 v4, 0xffffff81, v4
	v_cndmask_b32_e32 v4, v4, v54, vcc
	v_lshrrev_b32_e32 v20, 23, v19
	v_add3_u32 v23, v17, v4, v20
	v_add_u32_e32 v17, 6, v23
	v_and_b32_e32 v4, 0xfffff, v27
	v_add_u32_e32 v19, v4, v19
	v_mov_b32_e32 v20, v41
	v_cmp_ne_u32_e32 vcc, 0, v17
                                        ; implicit-def: $vgpr4
	s_and_saveexec_b64 s[18:19], vcc
	s_xor_b64 s[18:19], exec, s[18:19]
; %bb.84:                               ;   in Loop: Header=BB0_68 Depth=2
	v_cmp_lt_u64_e32 vcc, s[58:59], v[19:20]
	v_add_u32_e32 v4, 7, v23
	v_cndmask_b32_e32 v4, v17, v4, vcc
	v_cndmask_b32_e64 v17, 0, 1, vcc
	v_lshrrev_b64 v[19:20], v17, v[19:20]
; %bb.85:                               ;   in Loop: Header=BB0_68 Depth=2
	s_andn2_saveexec_b64 s[18:19], s[18:19]
; %bb.86:                               ;   in Loop: Header=BB0_68 Depth=2
	v_bfe_u32 v4, v19, 23, 1
; %bb.87:                               ;   in Loop: Header=BB0_68 Depth=2
	s_or_b64 exec, exec, s[18:19]
	v_lshrrev_b64 v[19:20], 20, v[19:20]
	v_cmp_gt_i32_e32 vcc, 16, v4
	v_cndmask_b32_e32 v20, 0, v20, vcc
	v_cndmask_b32_e32 v19, 7, v19, vcc
	v_cmp_eq_u32_e32 vcc, 0, v4
	v_min_i32_e32 v4, 15, v4
	v_cmp_eq_u64_e64 s[18:19], 0, v[19:20]
	v_lshlrev_b32_e32 v4, 3, v4
	v_and_b32_e32 v4, 0xf8, v4
	v_and_or_b32 v4, v19, 7, v4
	s_and_b64 s[18:19], vcc, s[18:19]
	v_cndmask_b32_e64 v4, v4, 0, s[18:19]
	v_or_b32_e32 v17, v4, v0
.LBB0_88:                               ;   in Loop: Header=BB0_68 Depth=2
	s_or_b64 exec, exec, s[76:77]
                                        ; implicit-def: $vgpr0
.LBB0_89:                               ;   in Loop: Header=BB0_68 Depth=2
	s_andn2_saveexec_b64 s[18:19], s[74:75]
; %bb.90:                               ;   in Loop: Header=BB0_68 Depth=2
	v_or_b32_e32 v17, 0x7e, v0
; %bb.91:                               ;   in Loop: Header=BB0_68 Depth=2
	s_or_b64 exec, exec, s[18:19]
                                        ; implicit-def: $vgpr4
.LBB0_92:                               ;   in Loop: Header=BB0_68 Depth=2
	s_andn2_saveexec_b64 s[18:19], s[72:73]
; %bb.93:                               ;   in Loop: Header=BB0_68 Depth=2
	v_or_b32_sdwa v17, v4, s37 dst_sel:DWORD dst_unused:UNUSED_PAD src0_sel:BYTE_3 src1_sel:DWORD
; %bb.94:                               ;   in Loop: Header=BB0_68 Depth=2
	s_or_b64 exec, exec, s[18:19]
	v_lshrrev_b16_e32 v0, 8, v40
	v_cmp_ne_u16_e32 vcc, 0, v0
	v_mov_b32_e32 v4, 0
	s_and_saveexec_b64 s[18:19], vcc
	s_cbranch_execz .LBB0_100
; %bb.95:                               ;   in Loop: Header=BB0_68 Depth=2
	v_cmp_ne_u16_e32 vcc, s36, v0
	v_bfrev_b32_e32 v4, 1
	s_and_saveexec_b64 s[72:73], vcc
	s_cbranch_execz .LBB0_99
; %bb.96:                               ;   in Loop: Header=BB0_68 Depth=2
	v_and_b32_e32 v19, 0x7f, v0
	v_cmp_ne_u32_e32 vcc, s37, v19
	v_mov_b32_e32 v4, 0x7f800001
	s_and_saveexec_b64 s[74:75], vcc
	s_cbranch_execz .LBB0_98
; %bb.97:                               ;   in Loop: Header=BB0_68 Depth=2
	v_and_b32_e32 v4, 7, v0
	v_lshrrev_b32_e32 v23, 3, v19
	v_cmp_gt_u32_e32 vcc, 8, v19
	v_ffbh_u32_e32 v19, v4
	v_min_u32_e32 v24, 32, v19
	v_subrev_u32_e32 v19, 28, v24
	v_lshlrev_b64 v[19:20], v19, v[0:1]
	v_sub_u32_e32 v0, 29, v24
	v_and_b32_e32 v19, 7, v19
	v_cndmask_b32_e32 v0, v23, v0, vcc
	v_cndmask_b32_e32 v4, v4, v19, vcc
	v_lshlrev_b32_e32 v19, 16, v40
	v_lshlrev_b32_e32 v4, 20, v4
	v_and_b32_e32 v19, 0x80000000, v19
	v_lshl_add_u32 v0, v0, 23, v7
	v_or3_b32 v4, v19, v0, v4
.LBB0_98:                               ;   in Loop: Header=BB0_68 Depth=2
	s_or_b64 exec, exec, s[74:75]
.LBB0_99:                               ;   in Loop: Header=BB0_68 Depth=2
	s_or_b64 exec, exec, s[72:73]
.LBB0_100:                              ;   in Loop: Header=BB0_68 Depth=2
	s_or_b64 exec, exec, s[18:19]
	v_mul_f32_e32 v4, v62, v4
	v_and_b32_e32 v19, 0x7f800000, v4
	v_mov_b32_e32 v20, v41
	v_cmp_ne_u64_e32 vcc, s[46:47], v[19:20]
                                        ; implicit-def: $vgpr26
	s_and_saveexec_b64 s[18:19], vcc
	s_xor_b64 s[72:73], exec, s[18:19]
	s_cbranch_execz .LBB0_114
; %bb.101:                              ;   in Loop: Header=BB0_68 Depth=2
	v_and_b32_e32 v19, 0x7fffffff, v4
	v_mov_b32_e32 v20, v41
	v_cmp_gt_u64_e32 vcc, s[56:57], v[19:20]
	v_and_b32_sdwa v0, v4, s36 dst_sel:DWORD dst_unused:UNUSED_PAD src0_sel:BYTE_3 src1_sel:DWORD
                                        ; implicit-def: $vgpr26
	s_and_saveexec_b64 s[18:19], vcc
	s_xor_b64 s[74:75], exec, s[18:19]
	s_cbranch_execz .LBB0_111
; %bb.102:                              ;   in Loop: Header=BB0_68 Depth=2
	v_mov_b32_e32 v26, 0
	v_cmp_ne_u32_e32 vcc, 0, v4
	s_and_saveexec_b64 s[76:77], vcc
	s_cbranch_execz .LBB0_110
; %bb.103:                              ;   in Loop: Header=BB0_68 Depth=2
	v_and_b32_e32 v19, 0x7fffff, v4
	v_bfe_u32 v4, v4, 23, 8
	v_cmp_gt_u32_e64 s[18:19], s38, v4
	v_sub_u32_e32 v20, 0x79, v4
	v_cmp_eq_u32_e32 vcc, 0, v4
	v_cndmask_b32_e64 v20, 0, v20, s[18:19]
	v_or_b32_e32 v23, 0x800000, v19
	v_cndmask_b32_e32 v26, v20, v8, vcc
	v_cndmask_b32_e32 v19, v23, v19, vcc
	v_add_u32_e32 v23, 20, v26
	v_lshlrev_b64 v[23:24], v23, -1
	v_mov_b32_e32 v20, v41
	v_add_u32_e32 v27, 19, v26
	v_bfi_b32 v23, v23, 0, v19
	v_lshlrev_b64 v[27:28], v27, 1
	v_lshrrev_b64 v[19:20], v26, v[19:20]
	v_bfi_b32 v24, v24, 0, 0
	v_cmp_eq_u64_e64 s[18:19], v[23:24], v[27:28]
	v_mov_b32_e32 v28, v20
	v_mov_b32_e32 v27, v19
	s_and_saveexec_b64 s[78:79], s[18:19]
; %bb.104:                              ;   in Loop: Header=BB0_68 Depth=2
	v_bfe_u32 v20, v19, 20, 1
	v_add_co_u32_e64 v20, s[18:19], v19, v20
	v_add_co_u32_e64 v27, s[18:19], -1, v20
; %bb.105:                              ;   in Loop: Header=BB0_68 Depth=2
	s_or_b64 exec, exec, s[78:79]
	v_add_u32_e32 v4, 0xffffff81, v4
	v_cndmask_b32_e32 v4, v4, v54, vcc
	v_lshrrev_b32_e32 v20, 23, v19
	v_add3_u32 v24, v26, v4, v20
	v_add_u32_e32 v23, 6, v24
	v_and_b32_e32 v4, 0xfffff, v27
	v_add_u32_e32 v19, v4, v19
	v_mov_b32_e32 v20, v41
	v_cmp_ne_u32_e32 vcc, 0, v23
                                        ; implicit-def: $vgpr4
	s_and_saveexec_b64 s[18:19], vcc
	s_xor_b64 s[18:19], exec, s[18:19]
; %bb.106:                              ;   in Loop: Header=BB0_68 Depth=2
	v_cmp_lt_u64_e32 vcc, s[58:59], v[19:20]
	v_add_u32_e32 v4, 7, v24
	v_cndmask_b32_e32 v4, v23, v4, vcc
	v_cndmask_b32_e64 v23, 0, 1, vcc
	v_lshrrev_b64 v[19:20], v23, v[19:20]
; %bb.107:                              ;   in Loop: Header=BB0_68 Depth=2
	s_andn2_saveexec_b64 s[18:19], s[18:19]
; %bb.108:                              ;   in Loop: Header=BB0_68 Depth=2
	v_bfe_u32 v4, v19, 23, 1
; %bb.109:                              ;   in Loop: Header=BB0_68 Depth=2
	s_or_b64 exec, exec, s[18:19]
	v_lshrrev_b64 v[19:20], 20, v[19:20]
	v_cmp_gt_i32_e32 vcc, 16, v4
	v_cndmask_b32_e32 v20, 0, v20, vcc
	v_cndmask_b32_e32 v19, 7, v19, vcc
	v_cmp_eq_u32_e32 vcc, 0, v4
	v_min_i32_e32 v4, 15, v4
	v_cmp_eq_u64_e64 s[18:19], 0, v[19:20]
	v_lshlrev_b32_e32 v4, 3, v4
	v_and_b32_e32 v4, 0xf8, v4
	v_and_or_b32 v4, v19, 7, v4
	s_and_b64 s[18:19], vcc, s[18:19]
	v_cndmask_b32_e64 v4, v4, 0, s[18:19]
	v_or_b32_e32 v26, v4, v0
.LBB0_110:                              ;   in Loop: Header=BB0_68 Depth=2
	s_or_b64 exec, exec, s[76:77]
                                        ; implicit-def: $vgpr0
.LBB0_111:                              ;   in Loop: Header=BB0_68 Depth=2
	s_andn2_saveexec_b64 s[18:19], s[74:75]
; %bb.112:                              ;   in Loop: Header=BB0_68 Depth=2
	v_or_b32_e32 v26, 0x7e, v0
; %bb.113:                              ;   in Loop: Header=BB0_68 Depth=2
	s_or_b64 exec, exec, s[18:19]
                                        ; implicit-def: $vgpr4
.LBB0_114:                              ;   in Loop: Header=BB0_68 Depth=2
	s_andn2_saveexec_b64 s[18:19], s[72:73]
; %bb.115:                              ;   in Loop: Header=BB0_68 Depth=2
	v_or_b32_sdwa v26, v4, s37 dst_sel:DWORD dst_unused:UNUSED_PAD src0_sel:BYTE_3 src1_sel:DWORD
; %bb.116:                              ;   in Loop: Header=BB0_68 Depth=2
	s_or_b64 exec, exec, s[18:19]
	v_and_b32_sdwa v19, v40, s35 dst_sel:DWORD dst_unused:UNUSED_PAD src0_sel:WORD_1 src1_sel:DWORD
	v_lshrrev_b32_e32 v0, 16, v40
	v_cmp_ne_u16_e32 vcc, 0, v19
	v_mov_b32_e32 v4, 0
	s_and_saveexec_b64 s[18:19], vcc
	s_cbranch_execz .LBB0_122
; %bb.117:                              ;   in Loop: Header=BB0_68 Depth=2
	v_cmp_ne_u16_e32 vcc, s36, v19
	v_bfrev_b32_e32 v4, 1
	s_and_saveexec_b64 s[72:73], vcc
	s_cbranch_execz .LBB0_121
; %bb.118:                              ;   in Loop: Header=BB0_68 Depth=2
	v_bfe_u32 v19, v40, 16, 7
	v_cmp_ne_u32_e32 vcc, s37, v19
	v_mov_b32_e32 v4, 0x7f800001
	s_and_saveexec_b64 s[74:75], vcc
	s_cbranch_execz .LBB0_120
; %bb.119:                              ;   in Loop: Header=BB0_68 Depth=2
	v_and_b32_e32 v4, 7, v0
	v_lshrrev_b32_e32 v23, 3, v19
	v_cmp_gt_u32_e32 vcc, 8, v19
	v_ffbh_u32_e32 v19, v4
	v_min_u32_e32 v24, 32, v19
	v_subrev_u32_e32 v19, 28, v24
	v_lshlrev_b64 v[19:20], v19, v[0:1]
	v_sub_u32_e32 v0, 29, v24
	v_and_b32_e32 v19, 7, v19
	v_cndmask_b32_e32 v0, v23, v0, vcc
	v_cndmask_b32_e32 v4, v4, v19, vcc
	v_lshlrev_b32_sdwa v19, v55, v40 dst_sel:DWORD dst_unused:UNUSED_PAD src0_sel:DWORD src1_sel:WORD_1
	v_lshlrev_b32_e32 v4, 20, v4
	v_and_b32_e32 v19, 0x80000000, v19
	v_lshl_add_u32 v0, v0, 23, v7
	v_or3_b32 v4, v19, v0, v4
.LBB0_120:                              ;   in Loop: Header=BB0_68 Depth=2
	s_or_b64 exec, exec, s[74:75]
.LBB0_121:                              ;   in Loop: Header=BB0_68 Depth=2
	s_or_b64 exec, exec, s[72:73]
.LBB0_122:                              ;   in Loop: Header=BB0_68 Depth=2
	s_or_b64 exec, exec, s[18:19]
	v_mul_f32_e32 v4, v62, v4
	v_and_b32_e32 v19, 0x7f800000, v4
	v_mov_b32_e32 v20, v41
	v_cmp_ne_u64_e32 vcc, s[46:47], v[19:20]
                                        ; implicit-def: $vgpr30
	s_and_saveexec_b64 s[18:19], vcc
	s_xor_b64 s[72:73], exec, s[18:19]
	s_cbranch_execz .LBB0_136
; %bb.123:                              ;   in Loop: Header=BB0_68 Depth=2
	v_and_b32_e32 v19, 0x7fffffff, v4
	v_mov_b32_e32 v20, v41
	v_cmp_gt_u64_e32 vcc, s[56:57], v[19:20]
	v_and_b32_sdwa v0, v4, s36 dst_sel:DWORD dst_unused:UNUSED_PAD src0_sel:BYTE_3 src1_sel:DWORD
                                        ; implicit-def: $vgpr30
	s_and_saveexec_b64 s[18:19], vcc
	s_xor_b64 s[74:75], exec, s[18:19]
	s_cbranch_execz .LBB0_133
; %bb.124:                              ;   in Loop: Header=BB0_68 Depth=2
	v_mov_b32_e32 v30, 0
	v_cmp_ne_u32_e32 vcc, 0, v4
	s_and_saveexec_b64 s[76:77], vcc
	s_cbranch_execz .LBB0_132
; %bb.125:                              ;   in Loop: Header=BB0_68 Depth=2
	v_and_b32_e32 v19, 0x7fffff, v4
	v_bfe_u32 v4, v4, 23, 8
	v_cmp_gt_u32_e64 s[18:19], s38, v4
	v_sub_u32_e32 v20, 0x79, v4
	v_cmp_eq_u32_e32 vcc, 0, v4
	v_cndmask_b32_e64 v20, 0, v20, s[18:19]
	v_or_b32_e32 v23, 0x800000, v19
	v_cndmask_b32_e32 v30, v20, v8, vcc
	v_cndmask_b32_e32 v19, v23, v19, vcc
	v_add_u32_e32 v23, 20, v30
	v_lshlrev_b64 v[23:24], v23, -1
	v_mov_b32_e32 v20, v41
	v_add_u32_e32 v27, 19, v30
	v_bfi_b32 v23, v23, 0, v19
	v_lshlrev_b64 v[27:28], v27, 1
	v_lshrrev_b64 v[19:20], v30, v[19:20]
	v_bfi_b32 v24, v24, 0, 0
	v_cmp_eq_u64_e64 s[18:19], v[23:24], v[27:28]
	v_mov_b32_e32 v28, v20
	v_mov_b32_e32 v27, v19
	s_and_saveexec_b64 s[78:79], s[18:19]
; %bb.126:                              ;   in Loop: Header=BB0_68 Depth=2
	v_bfe_u32 v20, v19, 20, 1
	v_add_co_u32_e64 v20, s[18:19], v19, v20
	v_add_co_u32_e64 v27, s[18:19], -1, v20
; %bb.127:                              ;   in Loop: Header=BB0_68 Depth=2
	s_or_b64 exec, exec, s[78:79]
	v_add_u32_e32 v4, 0xffffff81, v4
	v_cndmask_b32_e32 v4, v4, v54, vcc
	v_lshrrev_b32_e32 v20, 23, v19
	v_add3_u32 v24, v30, v4, v20
	v_add_u32_e32 v23, 6, v24
	v_and_b32_e32 v4, 0xfffff, v27
	v_add_u32_e32 v19, v4, v19
	v_mov_b32_e32 v20, v41
	v_cmp_ne_u32_e32 vcc, 0, v23
                                        ; implicit-def: $vgpr4
	s_and_saveexec_b64 s[18:19], vcc
	s_xor_b64 s[18:19], exec, s[18:19]
; %bb.128:                              ;   in Loop: Header=BB0_68 Depth=2
	v_cmp_lt_u64_e32 vcc, s[58:59], v[19:20]
	v_add_u32_e32 v4, 7, v24
	v_cndmask_b32_e32 v4, v23, v4, vcc
	v_cndmask_b32_e64 v23, 0, 1, vcc
	v_lshrrev_b64 v[19:20], v23, v[19:20]
; %bb.129:                              ;   in Loop: Header=BB0_68 Depth=2
	s_andn2_saveexec_b64 s[18:19], s[18:19]
; %bb.130:                              ;   in Loop: Header=BB0_68 Depth=2
	v_bfe_u32 v4, v19, 23, 1
; %bb.131:                              ;   in Loop: Header=BB0_68 Depth=2
	s_or_b64 exec, exec, s[18:19]
	v_lshrrev_b64 v[19:20], 20, v[19:20]
	v_cmp_gt_i32_e32 vcc, 16, v4
	v_cndmask_b32_e32 v20, 0, v20, vcc
	v_cndmask_b32_e32 v19, 7, v19, vcc
	v_cmp_eq_u32_e32 vcc, 0, v4
	v_min_i32_e32 v4, 15, v4
	v_cmp_eq_u64_e64 s[18:19], 0, v[19:20]
	v_lshlrev_b32_e32 v4, 3, v4
	v_and_b32_e32 v4, 0xf8, v4
	v_and_or_b32 v4, v19, 7, v4
	s_and_b64 s[18:19], vcc, s[18:19]
	v_cndmask_b32_e64 v4, v4, 0, s[18:19]
	v_or_b32_e32 v30, v4, v0
.LBB0_132:                              ;   in Loop: Header=BB0_68 Depth=2
	s_or_b64 exec, exec, s[76:77]
                                        ; implicit-def: $vgpr0
.LBB0_133:                              ;   in Loop: Header=BB0_68 Depth=2
	s_andn2_saveexec_b64 s[18:19], s[74:75]
; %bb.134:                              ;   in Loop: Header=BB0_68 Depth=2
	v_or_b32_e32 v30, 0x7e, v0
; %bb.135:                              ;   in Loop: Header=BB0_68 Depth=2
	s_or_b64 exec, exec, s[18:19]
                                        ; implicit-def: $vgpr4
.LBB0_136:                              ;   in Loop: Header=BB0_68 Depth=2
	s_andn2_saveexec_b64 s[18:19], s[72:73]
; %bb.137:                              ;   in Loop: Header=BB0_68 Depth=2
	v_or_b32_sdwa v30, v4, s37 dst_sel:DWORD dst_unused:UNUSED_PAD src0_sel:BYTE_3 src1_sel:DWORD
; %bb.138:                              ;   in Loop: Header=BB0_68 Depth=2
	s_or_b64 exec, exec, s[18:19]
	v_cmp_lt_u32_e32 vcc, s39, v40
	v_mov_b32_e32 v4, 0
	s_and_saveexec_b64 s[18:19], vcc
	s_cbranch_execz .LBB0_144
; %bb.139:                              ;   in Loop: Header=BB0_68 Depth=2
	v_lshrrev_b32_e32 v0, 24, v40
	v_cmp_ne_u32_sdwa s[74:75], v40, s36 src0_sel:BYTE_3 src1_sel:DWORD
	v_bfrev_b32_e32 v4, 1
	s_and_saveexec_b64 s[72:73], s[74:75]
	s_cbranch_execz .LBB0_143
; %bb.140:                              ;   in Loop: Header=BB0_68 Depth=2
	v_bfe_u32 v19, v40, 24, 7
	v_cmp_ne_u32_e32 vcc, s37, v19
	v_mov_b32_e32 v4, 0x7f800001
	s_and_saveexec_b64 s[74:75], vcc
	s_cbranch_execz .LBB0_142
; %bb.141:                              ;   in Loop: Header=BB0_68 Depth=2
	v_and_b32_e32 v4, 7, v0
	v_lshrrev_b32_e32 v23, 3, v19
	v_cmp_gt_u32_e32 vcc, 8, v19
	v_ffbh_u32_e32 v19, v4
	v_min_u32_e32 v24, 32, v19
	v_subrev_u32_e32 v19, 28, v24
	v_lshlrev_b64 v[19:20], v19, v[0:1]
	v_sub_u32_e32 v0, 29, v24
	v_and_b32_e32 v19, 7, v19
	v_cndmask_b32_e32 v0, v23, v0, vcc
	v_cndmask_b32_e32 v4, v4, v19, vcc
	v_lshlrev_b32_sdwa v19, v55, v40 dst_sel:DWORD dst_unused:UNUSED_PAD src0_sel:DWORD src1_sel:BYTE_3
	v_lshlrev_b32_e32 v4, 20, v4
	v_and_b32_e32 v19, 0x80000000, v19
	v_lshl_add_u32 v0, v0, 23, v7
	v_or3_b32 v4, v19, v0, v4
.LBB0_142:                              ;   in Loop: Header=BB0_68 Depth=2
	s_or_b64 exec, exec, s[74:75]
.LBB0_143:                              ;   in Loop: Header=BB0_68 Depth=2
	s_or_b64 exec, exec, s[72:73]
.LBB0_144:                              ;   in Loop: Header=BB0_68 Depth=2
	s_or_b64 exec, exec, s[18:19]
	v_mul_f32_e32 v19, v62, v4
	v_and_b32_e32 v40, 0x7f800000, v19
	v_cmp_ne_u64_e32 vcc, s[46:47], v[40:41]
                                        ; implicit-def: $vgpr4
	s_and_saveexec_b64 s[18:19], vcc
	s_xor_b64 s[72:73], exec, s[18:19]
	s_cbranch_execz .LBB0_158
; %bb.145:                              ;   in Loop: Header=BB0_68 Depth=2
	v_and_b32_e32 v40, 0x7fffffff, v19
	v_cmp_gt_u64_e32 vcc, s[56:57], v[40:41]
	v_and_b32_sdwa v0, v19, s36 dst_sel:DWORD dst_unused:UNUSED_PAD src0_sel:BYTE_3 src1_sel:DWORD
                                        ; implicit-def: $vgpr4
	s_and_saveexec_b64 s[18:19], vcc
	s_xor_b64 s[74:75], exec, s[18:19]
	s_cbranch_execz .LBB0_155
; %bb.146:                              ;   in Loop: Header=BB0_68 Depth=2
	v_mov_b32_e32 v4, 0
	v_cmp_ne_u32_e32 vcc, 0, v19
	s_and_saveexec_b64 s[76:77], vcc
	s_cbranch_execz .LBB0_154
; %bb.147:                              ;   in Loop: Header=BB0_68 Depth=2
	v_bfe_u32 v4, v19, 23, 8
	v_and_b32_e32 v20, 0x7fffff, v19
	v_cmp_gt_u32_e64 s[18:19], s38, v4
	v_sub_u32_e32 v19, 0x79, v4
	v_cmp_eq_u32_e32 vcc, 0, v4
	v_cndmask_b32_e64 v19, 0, v19, s[18:19]
	v_cndmask_b32_e32 v33, v19, v8, vcc
	v_or_b32_e32 v23, 0x800000, v20
	v_add_u32_e32 v19, 20, v33
	v_cndmask_b32_e32 v40, v23, v20, vcc
	v_lshlrev_b64 v[19:20], v19, -1
	v_add_u32_e32 v23, 19, v33
	v_lshlrev_b64 v[23:24], v23, 1
	v_bfi_b32 v20, v20, 0, 0
	v_bfi_b32 v19, v19, 0, v40
	v_cmp_eq_u64_e64 s[18:19], v[19:20], v[23:24]
	v_lshrrev_b64 v[19:20], v33, v[40:41]
	v_mov_b32_e32 v28, v20
	v_mov_b32_e32 v27, v19
	s_and_saveexec_b64 s[78:79], s[18:19]
; %bb.148:                              ;   in Loop: Header=BB0_68 Depth=2
	v_bfe_u32 v20, v19, 20, 1
	v_add_co_u32_e64 v20, s[18:19], v19, v20
	v_add_co_u32_e64 v27, s[18:19], -1, v20
; %bb.149:                              ;   in Loop: Header=BB0_68 Depth=2
	s_or_b64 exec, exec, s[78:79]
	v_add_u32_e32 v4, 0xffffff81, v4
	v_cndmask_b32_e32 v4, v4, v54, vcc
	v_lshrrev_b32_e32 v20, 23, v19
	v_add3_u32 v24, v33, v4, v20
	v_add_u32_e32 v23, 6, v24
	v_and_b32_e32 v4, 0xfffff, v27
	v_add_u32_e32 v40, v4, v19
	v_cmp_ne_u32_e32 vcc, 0, v23
                                        ; implicit-def: $vgpr19_vgpr20
                                        ; implicit-def: $vgpr4
	s_and_saveexec_b64 s[18:19], vcc
	s_xor_b64 s[18:19], exec, s[18:19]
; %bb.150:                              ;   in Loop: Header=BB0_68 Depth=2
	v_cmp_lt_u64_e32 vcc, s[58:59], v[40:41]
	v_add_u32_e32 v4, 7, v24
	v_cndmask_b32_e64 v19, 0, 1, vcc
	v_cndmask_b32_e32 v4, v23, v4, vcc
	v_lshrrev_b64 v[19:20], v19, v[40:41]
; %bb.151:                              ;   in Loop: Header=BB0_68 Depth=2
	s_andn2_saveexec_b64 s[18:19], s[18:19]
; %bb.152:                              ;   in Loop: Header=BB0_68 Depth=2
	v_mov_b32_e32 v19, v40
	v_bfe_u32 v4, v40, 23, 1
	v_mov_b32_e32 v20, v41
; %bb.153:                              ;   in Loop: Header=BB0_68 Depth=2
	s_or_b64 exec, exec, s[18:19]
	v_lshrrev_b64 v[19:20], 20, v[19:20]
	v_cmp_gt_i32_e32 vcc, 16, v4
	v_cndmask_b32_e32 v20, 0, v20, vcc
	v_cndmask_b32_e32 v19, 7, v19, vcc
	v_cmp_eq_u32_e32 vcc, 0, v4
	v_min_i32_e32 v4, 15, v4
	v_cmp_eq_u64_e64 s[18:19], 0, v[19:20]
	v_lshlrev_b32_e32 v4, 3, v4
	v_and_b32_e32 v4, 0xf8, v4
	v_and_or_b32 v4, v19, 7, v4
	s_and_b64 s[18:19], vcc, s[18:19]
	v_cndmask_b32_e64 v4, v4, 0, s[18:19]
	v_or_b32_e32 v4, v4, v0
.LBB0_154:                              ;   in Loop: Header=BB0_68 Depth=2
	s_or_b64 exec, exec, s[76:77]
                                        ; implicit-def: $vgpr0
.LBB0_155:                              ;   in Loop: Header=BB0_68 Depth=2
	s_andn2_saveexec_b64 s[18:19], s[74:75]
; %bb.156:                              ;   in Loop: Header=BB0_68 Depth=2
	v_or_b32_e32 v4, 0x7e, v0
; %bb.157:                              ;   in Loop: Header=BB0_68 Depth=2
	s_or_b64 exec, exec, s[18:19]
                                        ; implicit-def: $vgpr19
.LBB0_158:                              ;   in Loop: Header=BB0_68 Depth=2
	s_andn2_saveexec_b64 s[18:19], s[72:73]
; %bb.159:                              ;   in Loop: Header=BB0_68 Depth=2
	v_or_b32_sdwa v4, v19, s37 dst_sel:DWORD dst_unused:UNUSED_PAD src0_sel:BYTE_3 src1_sel:DWORD
; %bb.160:                              ;   in Loop: Header=BB0_68 Depth=2
	s_or_b64 exec, exec, s[18:19]
	v_alignbit_b32 v40, v31, v32, v10
	v_cmp_ne_u16_sdwa s[72:73], v40, v41 src0_sel:BYTE_0 src1_sel:DWORD
	v_mov_b32_e32 v0, 0
	s_and_saveexec_b64 s[18:19], s[72:73]
	s_cbranch_execz .LBB0_166
; %bb.161:                              ;   in Loop: Header=BB0_68 Depth=2
	v_cmp_ne_u16_sdwa s[74:75], v40, s36 src0_sel:BYTE_0 src1_sel:DWORD
	v_bfrev_b32_e32 v0, 1
	s_and_saveexec_b64 s[72:73], s[74:75]
	s_cbranch_execz .LBB0_165
; %bb.162:                              ;   in Loop: Header=BB0_68 Depth=2
	v_and_b32_e32 v19, 0x7f, v40
	v_cmp_ne_u32_e32 vcc, s37, v19
	v_mov_b32_e32 v0, 0x7f800001
	s_and_saveexec_b64 s[74:75], vcc
	s_cbranch_execz .LBB0_164
; %bb.163:                              ;   in Loop: Header=BB0_68 Depth=2
	v_and_b32_e32 v0, 7, v40
	v_ffbh_u32_e32 v0, v0
	v_min_u32_e32 v0, 32, v0
	v_lshrrev_b32_e32 v20, 3, v19
	v_cmp_gt_u32_e32 vcc, 8, v19
	v_subrev_u32_e32 v19, 28, v0
	v_sub_u32_e32 v0, 29, v0
	v_cndmask_b32_e32 v19, 0, v19, vcc
	v_cndmask_b32_e32 v0, v20, v0, vcc
	v_lshlrev_b64 v[19:20], v19, v[40:41]
	v_lshlrev_b32_e32 v20, 24, v40
	v_lshlrev_b32_e32 v19, 20, v19
	v_and_b32_e32 v19, 0x700000, v19
	v_and_b32_e32 v20, 0x80000000, v20
	v_lshl_add_u32 v0, v0, 23, v7
	v_or3_b32 v0, v20, v0, v19
.LBB0_164:                              ;   in Loop: Header=BB0_68 Depth=2
	s_or_b64 exec, exec, s[74:75]
.LBB0_165:                              ;   in Loop: Header=BB0_68 Depth=2
	s_or_b64 exec, exec, s[72:73]
.LBB0_166:                              ;   in Loop: Header=BB0_68 Depth=2
	s_or_b64 exec, exec, s[18:19]
	v_mul_f32_e32 v19, v62, v0
	v_and_b32_e32 v23, 0x7f800000, v19
	v_mov_b32_e32 v24, v41
	v_cmp_ne_u64_e32 vcc, s[46:47], v[23:24]
                                        ; implicit-def: $vgpr31
	s_and_saveexec_b64 s[18:19], vcc
	s_xor_b64 s[72:73], exec, s[18:19]
	s_cbranch_execz .LBB0_180
; %bb.167:                              ;   in Loop: Header=BB0_68 Depth=2
	v_and_b32_e32 v23, 0x7fffffff, v19
	v_mov_b32_e32 v24, v41
	v_cmp_gt_u64_e32 vcc, s[56:57], v[23:24]
	v_and_b32_sdwa v0, v19, s36 dst_sel:DWORD dst_unused:UNUSED_PAD src0_sel:BYTE_3 src1_sel:DWORD
                                        ; implicit-def: $vgpr31
	s_and_saveexec_b64 s[18:19], vcc
	s_xor_b64 s[74:75], exec, s[18:19]
	s_cbranch_execz .LBB0_177
; %bb.168:                              ;   in Loop: Header=BB0_68 Depth=2
	v_mov_b32_e32 v31, 0
	v_cmp_ne_u32_e32 vcc, 0, v19
	s_and_saveexec_b64 s[76:77], vcc
	s_cbranch_execz .LBB0_176
; %bb.169:                              ;   in Loop: Header=BB0_68 Depth=2
	v_bfe_u32 v31, v19, 23, 8
	v_and_b32_e32 v20, 0x7fffff, v19
	v_cmp_gt_u32_e64 s[18:19], s38, v31
	v_sub_u32_e32 v19, 0x79, v31
	v_cmp_eq_u32_e32 vcc, 0, v31
	v_cndmask_b32_e64 v19, 0, v19, s[18:19]
	v_or_b32_e32 v23, 0x800000, v20
	v_cndmask_b32_e32 v32, v19, v8, vcc
	v_cndmask_b32_e32 v19, v23, v20, vcc
	v_add_u32_e32 v23, 20, v32
	v_lshlrev_b64 v[23:24], v23, -1
	v_mov_b32_e32 v20, v41
	v_add_u32_e32 v27, 19, v32
	v_bfi_b32 v23, v23, 0, v19
	v_lshlrev_b64 v[27:28], v27, 1
	v_lshrrev_b64 v[19:20], v32, v[19:20]
	v_bfi_b32 v24, v24, 0, 0
	v_cmp_eq_u64_e64 s[18:19], v[23:24], v[27:28]
	v_mov_b32_e32 v28, v20
	v_mov_b32_e32 v27, v19
	s_and_saveexec_b64 s[78:79], s[18:19]
; %bb.170:                              ;   in Loop: Header=BB0_68 Depth=2
	v_bfe_u32 v20, v19, 20, 1
	v_add_co_u32_e64 v20, s[18:19], v19, v20
	v_add_co_u32_e64 v27, s[18:19], -1, v20
; %bb.171:                              ;   in Loop: Header=BB0_68 Depth=2
	s_or_b64 exec, exec, s[78:79]
	v_add_u32_e32 v20, 0xffffff81, v31
	v_cndmask_b32_e32 v20, v20, v54, vcc
	v_lshrrev_b32_e32 v23, 23, v19
	v_add3_u32 v24, v32, v20, v23
	v_add_u32_e32 v23, 6, v24
	v_and_b32_e32 v20, 0xfffff, v27
	v_add_u32_e32 v19, v20, v19
	v_mov_b32_e32 v20, v41
	v_cmp_ne_u32_e32 vcc, 0, v23
                                        ; implicit-def: $vgpr27
	s_and_saveexec_b64 s[18:19], vcc
	s_xor_b64 s[18:19], exec, s[18:19]
; %bb.172:                              ;   in Loop: Header=BB0_68 Depth=2
	v_cmp_lt_u64_e32 vcc, s[58:59], v[19:20]
	v_add_u32_e32 v24, 7, v24
	v_cndmask_b32_e32 v27, v23, v24, vcc
	v_cndmask_b32_e64 v23, 0, 1, vcc
	v_lshrrev_b64 v[19:20], v23, v[19:20]
; %bb.173:                              ;   in Loop: Header=BB0_68 Depth=2
	s_andn2_saveexec_b64 s[18:19], s[18:19]
; %bb.174:                              ;   in Loop: Header=BB0_68 Depth=2
	v_bfe_u32 v27, v19, 23, 1
; %bb.175:                              ;   in Loop: Header=BB0_68 Depth=2
	s_or_b64 exec, exec, s[18:19]
	v_lshrrev_b64 v[19:20], 20, v[19:20]
	v_cmp_gt_i32_e32 vcc, 16, v27
	v_cndmask_b32_e32 v20, 0, v20, vcc
	v_cndmask_b32_e32 v19, 7, v19, vcc
	v_cmp_eq_u64_e64 s[18:19], 0, v[19:20]
	v_min_i32_e32 v20, 15, v27
	v_lshlrev_b32_e32 v20, 3, v20
	v_cmp_eq_u32_e32 vcc, 0, v27
	v_and_b32_e32 v20, 0xf8, v20
	v_and_or_b32 v19, v19, 7, v20
	s_and_b64 s[18:19], vcc, s[18:19]
	v_cndmask_b32_e64 v19, v19, 0, s[18:19]
	v_or_b32_e32 v31, v19, v0
.LBB0_176:                              ;   in Loop: Header=BB0_68 Depth=2
	s_or_b64 exec, exec, s[76:77]
                                        ; implicit-def: $vgpr0
.LBB0_177:                              ;   in Loop: Header=BB0_68 Depth=2
	s_andn2_saveexec_b64 s[18:19], s[74:75]
; %bb.178:                              ;   in Loop: Header=BB0_68 Depth=2
	v_or_b32_e32 v31, 0x7e, v0
; %bb.179:                              ;   in Loop: Header=BB0_68 Depth=2
	s_or_b64 exec, exec, s[18:19]
                                        ; implicit-def: $vgpr19
.LBB0_180:                              ;   in Loop: Header=BB0_68 Depth=2
	s_andn2_saveexec_b64 s[18:19], s[72:73]
; %bb.181:                              ;   in Loop: Header=BB0_68 Depth=2
	v_or_b32_sdwa v31, v19, s37 dst_sel:DWORD dst_unused:UNUSED_PAD src0_sel:BYTE_3 src1_sel:DWORD
; %bb.182:                              ;   in Loop: Header=BB0_68 Depth=2
	s_or_b64 exec, exec, s[18:19]
	v_lshrrev_b16_e32 v0, 8, v40
	v_cmp_ne_u16_e32 vcc, 0, v0
	v_mov_b32_e32 v19, 0
	s_and_saveexec_b64 s[18:19], vcc
	s_cbranch_execz .LBB0_188
; %bb.183:                              ;   in Loop: Header=BB0_68 Depth=2
	v_cmp_ne_u16_e32 vcc, s36, v0
	v_bfrev_b32_e32 v19, 1
	s_and_saveexec_b64 s[72:73], vcc
	s_cbranch_execz .LBB0_187
; %bb.184:                              ;   in Loop: Header=BB0_68 Depth=2
	v_and_b32_e32 v20, 0x7f, v0
	v_cmp_ne_u32_e32 vcc, s37, v20
	v_mov_b32_e32 v19, 0x7f800001
	s_and_saveexec_b64 s[74:75], vcc
	s_cbranch_execz .LBB0_186
; %bb.185:                              ;   in Loop: Header=BB0_68 Depth=2
	v_and_b32_e32 v23, 7, v0
	v_ffbh_u32_e32 v19, v23
	v_min_u32_e32 v27, 32, v19
	v_subrev_u32_e32 v19, 28, v27
	v_lshrrev_b32_e32 v24, 3, v20
	v_cmp_gt_u32_e32 vcc, 8, v20
	v_lshlrev_b64 v[19:20], v19, v[0:1]
	v_sub_u32_e32 v0, 29, v27
	v_and_b32_e32 v19, 7, v19
	v_cndmask_b32_e32 v0, v24, v0, vcc
	v_cndmask_b32_e32 v19, v23, v19, vcc
	v_lshlrev_b32_e32 v20, 16, v40
	v_lshlrev_b32_e32 v19, 20, v19
	v_and_b32_e32 v20, 0x80000000, v20
	v_lshl_add_u32 v0, v0, 23, v7
	v_or3_b32 v19, v20, v0, v19
.LBB0_186:                              ;   in Loop: Header=BB0_68 Depth=2
	s_or_b64 exec, exec, s[74:75]
.LBB0_187:                              ;   in Loop: Header=BB0_68 Depth=2
	s_or_b64 exec, exec, s[72:73]
.LBB0_188:                              ;   in Loop: Header=BB0_68 Depth=2
	s_or_b64 exec, exec, s[18:19]
	v_mul_f32_e32 v19, v62, v19
	v_and_b32_e32 v23, 0x7f800000, v19
	v_mov_b32_e32 v24, v41
	v_cmp_ne_u64_e32 vcc, s[46:47], v[23:24]
                                        ; implicit-def: $vgpr32
	s_and_saveexec_b64 s[18:19], vcc
	s_xor_b64 s[72:73], exec, s[18:19]
	s_cbranch_execz .LBB0_202
; %bb.189:                              ;   in Loop: Header=BB0_68 Depth=2
	v_and_b32_e32 v23, 0x7fffffff, v19
	v_mov_b32_e32 v24, v41
	v_cmp_gt_u64_e32 vcc, s[56:57], v[23:24]
	v_and_b32_sdwa v0, v19, s36 dst_sel:DWORD dst_unused:UNUSED_PAD src0_sel:BYTE_3 src1_sel:DWORD
                                        ; implicit-def: $vgpr32
	s_and_saveexec_b64 s[18:19], vcc
	s_xor_b64 s[74:75], exec, s[18:19]
	s_cbranch_execz .LBB0_199
; %bb.190:                              ;   in Loop: Header=BB0_68 Depth=2
	v_mov_b32_e32 v32, 0
	v_cmp_ne_u32_e32 vcc, 0, v19
	s_and_saveexec_b64 s[76:77], vcc
	s_cbranch_execz .LBB0_198
; %bb.191:                              ;   in Loop: Header=BB0_68 Depth=2
	v_bfe_u32 v32, v19, 23, 8
	v_and_b32_e32 v20, 0x7fffff, v19
	v_cmp_gt_u32_e64 s[18:19], s38, v32
	v_sub_u32_e32 v19, 0x79, v32
	v_cmp_eq_u32_e32 vcc, 0, v32
	v_cndmask_b32_e64 v19, 0, v19, s[18:19]
	v_or_b32_e32 v23, 0x800000, v20
	v_cndmask_b32_e32 v33, v19, v8, vcc
	v_cndmask_b32_e32 v19, v23, v20, vcc
	v_add_u32_e32 v23, 20, v33
	v_lshlrev_b64 v[23:24], v23, -1
	v_mov_b32_e32 v20, v41
	v_add_u32_e32 v27, 19, v33
	v_bfi_b32 v23, v23, 0, v19
	v_lshlrev_b64 v[27:28], v27, 1
	v_lshrrev_b64 v[19:20], v33, v[19:20]
	v_bfi_b32 v24, v24, 0, 0
	v_cmp_eq_u64_e64 s[18:19], v[23:24], v[27:28]
	v_mov_b32_e32 v28, v20
	v_mov_b32_e32 v27, v19
	s_and_saveexec_b64 s[78:79], s[18:19]
; %bb.192:                              ;   in Loop: Header=BB0_68 Depth=2
	v_bfe_u32 v20, v19, 20, 1
	v_add_co_u32_e64 v20, s[18:19], v19, v20
	v_add_co_u32_e64 v27, s[18:19], -1, v20
; %bb.193:                              ;   in Loop: Header=BB0_68 Depth=2
	s_or_b64 exec, exec, s[78:79]
	v_add_u32_e32 v20, 0xffffff81, v32
	v_cndmask_b32_e32 v20, v20, v54, vcc
	v_lshrrev_b32_e32 v23, 23, v19
	v_add3_u32 v24, v33, v20, v23
	v_add_u32_e32 v23, 6, v24
	v_and_b32_e32 v20, 0xfffff, v27
	v_add_u32_e32 v19, v20, v19
	v_mov_b32_e32 v20, v41
	v_cmp_ne_u32_e32 vcc, 0, v23
                                        ; implicit-def: $vgpr27
	s_and_saveexec_b64 s[18:19], vcc
	s_xor_b64 s[18:19], exec, s[18:19]
; %bb.194:                              ;   in Loop: Header=BB0_68 Depth=2
	v_cmp_lt_u64_e32 vcc, s[58:59], v[19:20]
	v_add_u32_e32 v24, 7, v24
	v_cndmask_b32_e32 v27, v23, v24, vcc
	v_cndmask_b32_e64 v23, 0, 1, vcc
	v_lshrrev_b64 v[19:20], v23, v[19:20]
; %bb.195:                              ;   in Loop: Header=BB0_68 Depth=2
	s_andn2_saveexec_b64 s[18:19], s[18:19]
; %bb.196:                              ;   in Loop: Header=BB0_68 Depth=2
	v_bfe_u32 v27, v19, 23, 1
; %bb.197:                              ;   in Loop: Header=BB0_68 Depth=2
	s_or_b64 exec, exec, s[18:19]
	v_lshrrev_b64 v[19:20], 20, v[19:20]
	v_cmp_gt_i32_e32 vcc, 16, v27
	v_cndmask_b32_e32 v20, 0, v20, vcc
	v_cndmask_b32_e32 v19, 7, v19, vcc
	v_cmp_eq_u64_e64 s[18:19], 0, v[19:20]
	v_min_i32_e32 v20, 15, v27
	v_lshlrev_b32_e32 v20, 3, v20
	v_cmp_eq_u32_e32 vcc, 0, v27
	v_and_b32_e32 v20, 0xf8, v20
	v_and_or_b32 v19, v19, 7, v20
	s_and_b64 s[18:19], vcc, s[18:19]
	v_cndmask_b32_e64 v19, v19, 0, s[18:19]
	v_or_b32_e32 v32, v19, v0
.LBB0_198:                              ;   in Loop: Header=BB0_68 Depth=2
	s_or_b64 exec, exec, s[76:77]
                                        ; implicit-def: $vgpr0
.LBB0_199:                              ;   in Loop: Header=BB0_68 Depth=2
	s_andn2_saveexec_b64 s[18:19], s[74:75]
; %bb.200:                              ;   in Loop: Header=BB0_68 Depth=2
	v_or_b32_e32 v32, 0x7e, v0
; %bb.201:                              ;   in Loop: Header=BB0_68 Depth=2
	s_or_b64 exec, exec, s[18:19]
                                        ; implicit-def: $vgpr19
.LBB0_202:                              ;   in Loop: Header=BB0_68 Depth=2
	s_andn2_saveexec_b64 s[18:19], s[72:73]
; %bb.203:                              ;   in Loop: Header=BB0_68 Depth=2
	v_or_b32_sdwa v32, v19, s37 dst_sel:DWORD dst_unused:UNUSED_PAD src0_sel:BYTE_3 src1_sel:DWORD
; %bb.204:                              ;   in Loop: Header=BB0_68 Depth=2
	s_or_b64 exec, exec, s[18:19]
	v_and_b32_sdwa v20, v40, s35 dst_sel:DWORD dst_unused:UNUSED_PAD src0_sel:WORD_1 src1_sel:DWORD
	v_lshrrev_b32_e32 v0, 16, v40
	v_cmp_ne_u16_e32 vcc, 0, v20
	v_mov_b32_e32 v19, 0
	s_and_saveexec_b64 s[18:19], vcc
	s_cbranch_execz .LBB0_210
; %bb.205:                              ;   in Loop: Header=BB0_68 Depth=2
	v_cmp_ne_u16_e32 vcc, s36, v20
	v_bfrev_b32_e32 v19, 1
	s_and_saveexec_b64 s[72:73], vcc
	s_cbranch_execz .LBB0_209
; %bb.206:                              ;   in Loop: Header=BB0_68 Depth=2
	v_bfe_u32 v20, v40, 16, 7
	v_cmp_ne_u32_e32 vcc, s37, v20
	v_mov_b32_e32 v19, 0x7f800001
	s_and_saveexec_b64 s[74:75], vcc
	s_cbranch_execz .LBB0_208
; %bb.207:                              ;   in Loop: Header=BB0_68 Depth=2
	v_and_b32_e32 v23, 7, v0
	v_ffbh_u32_e32 v19, v23
	v_min_u32_e32 v27, 32, v19
	v_subrev_u32_e32 v19, 28, v27
	v_lshrrev_b32_e32 v24, 3, v20
	v_cmp_gt_u32_e32 vcc, 8, v20
	v_lshlrev_b64 v[19:20], v19, v[0:1]
	v_sub_u32_e32 v0, 29, v27
	v_and_b32_e32 v19, 7, v19
	v_cndmask_b32_e32 v0, v24, v0, vcc
	v_cndmask_b32_e32 v19, v23, v19, vcc
	v_lshlrev_b32_sdwa v20, v55, v40 dst_sel:DWORD dst_unused:UNUSED_PAD src0_sel:DWORD src1_sel:WORD_1
	v_lshlrev_b32_e32 v19, 20, v19
	v_and_b32_e32 v20, 0x80000000, v20
	v_lshl_add_u32 v0, v0, 23, v7
	v_or3_b32 v19, v20, v0, v19
.LBB0_208:                              ;   in Loop: Header=BB0_68 Depth=2
	s_or_b64 exec, exec, s[74:75]
.LBB0_209:                              ;   in Loop: Header=BB0_68 Depth=2
	s_or_b64 exec, exec, s[72:73]
.LBB0_210:                              ;   in Loop: Header=BB0_68 Depth=2
	s_or_b64 exec, exec, s[18:19]
	v_mul_f32_e32 v19, v62, v19
	v_and_b32_e32 v23, 0x7f800000, v19
	v_mov_b32_e32 v24, v41
	v_cmp_ne_u64_e32 vcc, s[46:47], v[23:24]
                                        ; implicit-def: $vgpr33
	s_and_saveexec_b64 s[18:19], vcc
	s_xor_b64 s[72:73], exec, s[18:19]
	s_cbranch_execz .LBB0_224
; %bb.211:                              ;   in Loop: Header=BB0_68 Depth=2
	v_and_b32_e32 v23, 0x7fffffff, v19
	v_mov_b32_e32 v24, v41
	v_cmp_gt_u64_e32 vcc, s[56:57], v[23:24]
	v_and_b32_sdwa v0, v19, s36 dst_sel:DWORD dst_unused:UNUSED_PAD src0_sel:BYTE_3 src1_sel:DWORD
                                        ; implicit-def: $vgpr33
	s_and_saveexec_b64 s[18:19], vcc
	s_xor_b64 s[74:75], exec, s[18:19]
	s_cbranch_execz .LBB0_221
; %bb.212:                              ;   in Loop: Header=BB0_68 Depth=2
	v_mov_b32_e32 v33, 0
	v_cmp_ne_u32_e32 vcc, 0, v19
	s_and_saveexec_b64 s[76:77], vcc
	s_cbranch_execz .LBB0_220
; %bb.213:                              ;   in Loop: Header=BB0_68 Depth=2
	v_bfe_u32 v33, v19, 23, 8
	v_and_b32_e32 v20, 0x7fffff, v19
	v_cmp_gt_u32_e64 s[18:19], s38, v33
	v_sub_u32_e32 v19, 0x79, v33
	v_cmp_eq_u32_e32 vcc, 0, v33
	v_cndmask_b32_e64 v19, 0, v19, s[18:19]
	v_or_b32_e32 v23, 0x800000, v20
	v_cndmask_b32_e32 v49, v19, v8, vcc
	v_cndmask_b32_e32 v19, v23, v20, vcc
	v_add_u32_e32 v23, 20, v49
	v_lshlrev_b64 v[23:24], v23, -1
	v_mov_b32_e32 v20, v41
	v_add_u32_e32 v27, 19, v49
	v_bfi_b32 v23, v23, 0, v19
	v_lshlrev_b64 v[27:28], v27, 1
	v_lshrrev_b64 v[19:20], v49, v[19:20]
	v_bfi_b32 v24, v24, 0, 0
	v_cmp_eq_u64_e64 s[18:19], v[23:24], v[27:28]
	v_mov_b32_e32 v28, v20
	v_mov_b32_e32 v27, v19
	s_and_saveexec_b64 s[78:79], s[18:19]
; %bb.214:                              ;   in Loop: Header=BB0_68 Depth=2
	v_bfe_u32 v20, v19, 20, 1
	v_add_co_u32_e64 v20, s[18:19], v19, v20
	v_add_co_u32_e64 v27, s[18:19], -1, v20
; %bb.215:                              ;   in Loop: Header=BB0_68 Depth=2
	s_or_b64 exec, exec, s[78:79]
	v_add_u32_e32 v20, 0xffffff81, v33
	v_cndmask_b32_e32 v20, v20, v54, vcc
	v_lshrrev_b32_e32 v23, 23, v19
	v_add3_u32 v24, v49, v20, v23
	v_add_u32_e32 v23, 6, v24
	v_and_b32_e32 v20, 0xfffff, v27
	v_add_u32_e32 v19, v20, v19
	v_mov_b32_e32 v20, v41
	v_cmp_ne_u32_e32 vcc, 0, v23
                                        ; implicit-def: $vgpr27
	s_and_saveexec_b64 s[18:19], vcc
	s_xor_b64 s[18:19], exec, s[18:19]
; %bb.216:                              ;   in Loop: Header=BB0_68 Depth=2
	v_cmp_lt_u64_e32 vcc, s[58:59], v[19:20]
	v_add_u32_e32 v24, 7, v24
	v_cndmask_b32_e32 v27, v23, v24, vcc
	v_cndmask_b32_e64 v23, 0, 1, vcc
	v_lshrrev_b64 v[19:20], v23, v[19:20]
; %bb.217:                              ;   in Loop: Header=BB0_68 Depth=2
	s_andn2_saveexec_b64 s[18:19], s[18:19]
; %bb.218:                              ;   in Loop: Header=BB0_68 Depth=2
	v_bfe_u32 v27, v19, 23, 1
; %bb.219:                              ;   in Loop: Header=BB0_68 Depth=2
	s_or_b64 exec, exec, s[18:19]
	v_lshrrev_b64 v[19:20], 20, v[19:20]
	v_cmp_gt_i32_e32 vcc, 16, v27
	v_cndmask_b32_e32 v20, 0, v20, vcc
	v_cndmask_b32_e32 v19, 7, v19, vcc
	v_cmp_eq_u64_e64 s[18:19], 0, v[19:20]
	v_min_i32_e32 v20, 15, v27
	v_lshlrev_b32_e32 v20, 3, v20
	v_cmp_eq_u32_e32 vcc, 0, v27
	v_and_b32_e32 v20, 0xf8, v20
	v_and_or_b32 v19, v19, 7, v20
	s_and_b64 s[18:19], vcc, s[18:19]
	v_cndmask_b32_e64 v19, v19, 0, s[18:19]
	v_or_b32_e32 v33, v19, v0
.LBB0_220:                              ;   in Loop: Header=BB0_68 Depth=2
	s_or_b64 exec, exec, s[76:77]
                                        ; implicit-def: $vgpr0
.LBB0_221:                              ;   in Loop: Header=BB0_68 Depth=2
	s_andn2_saveexec_b64 s[18:19], s[74:75]
; %bb.222:                              ;   in Loop: Header=BB0_68 Depth=2
	v_or_b32_e32 v33, 0x7e, v0
; %bb.223:                              ;   in Loop: Header=BB0_68 Depth=2
	s_or_b64 exec, exec, s[18:19]
                                        ; implicit-def: $vgpr19
.LBB0_224:                              ;   in Loop: Header=BB0_68 Depth=2
	s_andn2_saveexec_b64 s[18:19], s[72:73]
; %bb.225:                              ;   in Loop: Header=BB0_68 Depth=2
	v_or_b32_sdwa v33, v19, s37 dst_sel:DWORD dst_unused:UNUSED_PAD src0_sel:BYTE_3 src1_sel:DWORD
; %bb.226:                              ;   in Loop: Header=BB0_68 Depth=2
	s_or_b64 exec, exec, s[18:19]
	v_cmp_lt_u32_e32 vcc, s39, v40
	v_mov_b32_e32 v19, 0
	s_and_saveexec_b64 s[18:19], vcc
	s_cbranch_execz .LBB0_232
; %bb.227:                              ;   in Loop: Header=BB0_68 Depth=2
	v_lshrrev_b32_e32 v0, 24, v40
	v_cmp_ne_u32_sdwa s[74:75], v40, s36 src0_sel:BYTE_3 src1_sel:DWORD
	v_bfrev_b32_e32 v19, 1
	s_and_saveexec_b64 s[72:73], s[74:75]
	s_cbranch_execz .LBB0_231
; %bb.228:                              ;   in Loop: Header=BB0_68 Depth=2
	v_bfe_u32 v20, v40, 24, 7
	v_cmp_ne_u32_e32 vcc, s37, v20
	v_mov_b32_e32 v19, 0x7f800001
	s_and_saveexec_b64 s[74:75], vcc
	s_cbranch_execz .LBB0_230
; %bb.229:                              ;   in Loop: Header=BB0_68 Depth=2
	v_and_b32_e32 v23, 7, v0
	v_ffbh_u32_e32 v19, v23
	v_min_u32_e32 v27, 32, v19
	v_subrev_u32_e32 v19, 28, v27
	v_lshrrev_b32_e32 v24, 3, v20
	v_cmp_gt_u32_e32 vcc, 8, v20
	v_lshlrev_b64 v[19:20], v19, v[0:1]
	v_sub_u32_e32 v0, 29, v27
	v_and_b32_e32 v19, 7, v19
	v_cndmask_b32_e32 v0, v24, v0, vcc
	v_cndmask_b32_e32 v19, v23, v19, vcc
	v_lshlrev_b32_sdwa v20, v55, v40 dst_sel:DWORD dst_unused:UNUSED_PAD src0_sel:DWORD src1_sel:BYTE_3
	v_lshlrev_b32_e32 v19, 20, v19
	v_and_b32_e32 v20, 0x80000000, v20
	v_lshl_add_u32 v0, v0, 23, v7
	v_or3_b32 v19, v20, v0, v19
.LBB0_230:                              ;   in Loop: Header=BB0_68 Depth=2
	s_or_b64 exec, exec, s[74:75]
.LBB0_231:                              ;   in Loop: Header=BB0_68 Depth=2
	s_or_b64 exec, exec, s[72:73]
.LBB0_232:                              ;   in Loop: Header=BB0_68 Depth=2
	s_or_b64 exec, exec, s[18:19]
	v_mul_f32_e32 v20, v62, v19
	v_and_b32_e32 v40, 0x7f800000, v20
	v_cmp_ne_u64_e32 vcc, s[46:47], v[40:41]
                                        ; implicit-def: $vgpr19
	s_and_saveexec_b64 s[18:19], vcc
	s_xor_b64 s[72:73], exec, s[18:19]
	s_cbranch_execz .LBB0_246
; %bb.233:                              ;   in Loop: Header=BB0_68 Depth=2
	v_and_b32_e32 v40, 0x7fffffff, v20
	v_cmp_gt_u64_e32 vcc, s[56:57], v[40:41]
	v_and_b32_sdwa v0, v20, s36 dst_sel:DWORD dst_unused:UNUSED_PAD src0_sel:BYTE_3 src1_sel:DWORD
                                        ; implicit-def: $vgpr19
	s_and_saveexec_b64 s[18:19], vcc
	s_xor_b64 s[74:75], exec, s[18:19]
	s_cbranch_execz .LBB0_243
; %bb.234:                              ;   in Loop: Header=BB0_68 Depth=2
	v_mov_b32_e32 v19, 0
	v_cmp_ne_u32_e32 vcc, 0, v20
	s_and_saveexec_b64 s[76:77], vcc
	s_cbranch_execz .LBB0_242
; %bb.235:                              ;   in Loop: Header=BB0_68 Depth=2
	v_bfe_u32 v49, v20, 23, 8
	v_and_b32_e32 v19, 0x7fffff, v20
	v_cmp_gt_u32_e64 s[18:19], s38, v49
	v_sub_u32_e32 v20, 0x79, v49
	v_cmp_eq_u32_e32 vcc, 0, v49
	v_cndmask_b32_e64 v20, 0, v20, s[18:19]
	v_or_b32_e32 v23, 0x800000, v19
	v_cndmask_b32_e32 v42, v20, v8, vcc
	v_cndmask_b32_e32 v40, v23, v19, vcc
	v_add_u32_e32 v19, 20, v42
	v_lshlrev_b64 v[19:20], v19, -1
	v_add_u32_e32 v23, 19, v42
	v_lshlrev_b64 v[23:24], v23, 1
	v_bfi_b32 v20, v20, 0, 0
	v_bfi_b32 v19, v19, 0, v40
	v_cmp_eq_u64_e64 s[18:19], v[19:20], v[23:24]
	v_lshrrev_b64 v[19:20], v42, v[40:41]
	v_mov_b32_e32 v28, v20
	v_mov_b32_e32 v27, v19
	s_and_saveexec_b64 s[78:79], s[18:19]
; %bb.236:                              ;   in Loop: Header=BB0_68 Depth=2
	v_bfe_u32 v20, v19, 20, 1
	v_add_co_u32_e64 v20, s[18:19], v19, v20
	v_add_co_u32_e64 v27, s[18:19], -1, v20
; %bb.237:                              ;   in Loop: Header=BB0_68 Depth=2
	s_or_b64 exec, exec, s[78:79]
	v_add_u32_e32 v20, 0xffffff81, v49
	v_cndmask_b32_e32 v20, v20, v54, vcc
	v_lshrrev_b32_e32 v23, 23, v19
	v_add3_u32 v24, v42, v20, v23
	v_add_u32_e32 v23, 6, v24
	v_and_b32_e32 v20, 0xfffff, v27
	v_add_u32_e32 v40, v20, v19
	v_cmp_ne_u32_e32 vcc, 0, v23
                                        ; implicit-def: $vgpr19_vgpr20
                                        ; implicit-def: $vgpr27
	s_and_saveexec_b64 s[18:19], vcc
	s_xor_b64 s[18:19], exec, s[18:19]
; %bb.238:                              ;   in Loop: Header=BB0_68 Depth=2
	v_cmp_lt_u64_e32 vcc, s[58:59], v[40:41]
	v_add_u32_e32 v19, 7, v24
	v_cndmask_b32_e32 v27, v23, v19, vcc
	v_cndmask_b32_e64 v19, 0, 1, vcc
	v_lshrrev_b64 v[19:20], v19, v[40:41]
; %bb.239:                              ;   in Loop: Header=BB0_68 Depth=2
	s_andn2_saveexec_b64 s[18:19], s[18:19]
; %bb.240:                              ;   in Loop: Header=BB0_68 Depth=2
	v_mov_b32_e32 v19, v40
	v_bfe_u32 v27, v40, 23, 1
	v_mov_b32_e32 v20, v41
; %bb.241:                              ;   in Loop: Header=BB0_68 Depth=2
	s_or_b64 exec, exec, s[18:19]
	v_lshrrev_b64 v[19:20], 20, v[19:20]
	v_cmp_gt_i32_e32 vcc, 16, v27
	v_cndmask_b32_e32 v20, 0, v20, vcc
	v_cndmask_b32_e32 v19, 7, v19, vcc
	v_cmp_eq_u64_e64 s[18:19], 0, v[19:20]
	v_min_i32_e32 v20, 15, v27
	v_lshlrev_b32_e32 v20, 3, v20
	v_cmp_eq_u32_e32 vcc, 0, v27
	v_and_b32_e32 v20, 0xf8, v20
	v_and_or_b32 v19, v19, 7, v20
	s_and_b64 s[18:19], vcc, s[18:19]
	v_cndmask_b32_e64 v19, v19, 0, s[18:19]
	v_or_b32_e32 v19, v19, v0
.LBB0_242:                              ;   in Loop: Header=BB0_68 Depth=2
	s_or_b64 exec, exec, s[76:77]
                                        ; implicit-def: $vgpr0
.LBB0_243:                              ;   in Loop: Header=BB0_68 Depth=2
	s_andn2_saveexec_b64 s[18:19], s[74:75]
; %bb.244:                              ;   in Loop: Header=BB0_68 Depth=2
	v_or_b32_e32 v19, 0x7e, v0
; %bb.245:                              ;   in Loop: Header=BB0_68 Depth=2
	s_or_b64 exec, exec, s[18:19]
                                        ; implicit-def: $vgpr20
.LBB0_246:                              ;   in Loop: Header=BB0_68 Depth=2
	s_andn2_saveexec_b64 s[18:19], s[72:73]
	s_cbranch_execz .LBB0_67
; %bb.247:                              ;   in Loop: Header=BB0_68 Depth=2
	v_or_b32_sdwa v19, v20, s37 dst_sel:DWORD dst_unused:UNUSED_PAD src0_sel:BYTE_3 src1_sel:DWORD
	s_branch .LBB0_67
.LBB0_248:                              ;   in Loop: Header=BB0_30 Depth=1
	s_or_b64 exec, exec, s[62:63]
.LBB0_249:                              ;   in Loop: Header=BB0_30 Depth=1
	s_or_b64 exec, exec, s[60:61]
	v_and_b32_e32 v40, 0x7ffffff8, v21
	v_cmp_eq_u64_e32 vcc, s[44:45], v[40:41]
	v_cmp_gt_i32_e64 s[18:19], s34, v29
	s_and_b64 s[18:19], vcc, s[18:19]
	s_and_saveexec_b64 s[60:61], s[18:19]
	s_cbranch_execz .LBB0_252
; %bb.250:                              ;   in Loop: Header=BB0_30 Depth=1
	v_mul_lo_u32 v9, v9, s34
	v_ashrrev_i32_e32 v30, 31, v29
	v_lshlrev_b64 v[19:20], 4, v[29:30]
	v_mov_b32_e32 v17, v41
	v_ashrrev_i32_e32 v10, 31, v9
	v_lshlrev_b64 v[9:10], 4, v[9:10]
	s_mov_b64 s[62:63], 0
	s_waitcnt lgkmcnt(0)
	v_add_co_u32_e32 v0, vcc, v19, v9
	v_addc_co_u32_e32 v4, vcc, v20, v10, vcc
	buffer_load_dword v9, off, s[0:3], s32 offset:68 ; 4-byte Folded Reload
	buffer_load_dword v10, off, s[0:3], s32 offset:72 ; 4-byte Folded Reload
	s_waitcnt vmcnt(1)
	v_add_co_u32_e32 v27, vcc, v9, v0
	s_waitcnt vmcnt(0)
	v_addc_co_u32_e32 v28, vcc, v10, v4, vcc
.LBB0_251:                              ;   Parent Loop BB0_30 Depth=1
                                        ; =>  This Inner Loop Header: Depth=2
	v_mov_b32_e32 v19, v17
	v_mov_b32_e32 v20, v18
	v_add_u32_e32 v29, v29, v1
	global_store_dwordx4 v[27:28], v[17:20], off
	v_add_co_u32_e32 v27, vcc, v27, v5
	v_cmp_le_i32_e64 s[18:19], s34, v29
	s_or_b64 s[62:63], s[18:19], s[62:63]
	v_addc_co_u32_e32 v28, vcc, v28, v6, vcc
	s_andn2_b64 exec, exec, s[62:63]
	s_cbranch_execnz .LBB0_251
.LBB0_252:                              ;   in Loop: Header=BB0_30 Depth=1
	s_or_b64 exec, exec, s[60:61]
	buffer_load_dword v9, off, s[0:3], s32 offset:140 ; 4-byte Folded Reload
	buffer_load_dword v10, off, s[0:3], s32 offset:144 ; 4-byte Folded Reload
	v_add_co_u32_e64 v46, s[18:19], 1, v21
	v_addc_co_u32_e64 v47, s[18:19], 0, v22, s[18:19]
	s_waitcnt vmcnt(0)
	v_add_co_u32_e32 v23, vcc, v36, v9
	buffer_store_dword v36, off, s[0:3], s32 offset:128 ; 4-byte Folded Spill
	s_nop 0
	buffer_store_dword v37, off, s[0:3], s32 offset:132 ; 4-byte Folded Spill
	v_addc_co_u32_e32 v24, vcc, v37, v10, vcc
	s_andn2_b64 vcc, exec, s[42:43]
	s_cbranch_vccnz .LBB0_734
; %bb.253:                              ;   in Loop: Header=BB0_30 Depth=1
	s_waitcnt lgkmcnt(0)
	buffer_load_dword v0, off, s[0:3], s32 offset:204 ; 4-byte Folded Reload
	v_add_u16_e32 v49, 1, v21
	s_mov_b32 s48, 2
	buffer_store_dword v23, off, s[0:3], s32 offset:180 ; 4-byte Folded Spill
	buffer_store_dword v24, off, s[0:3], s32 offset:184 ; 4-byte Folded Spill
	s_waitcnt vmcnt(2)
	v_add_co_u32_e32 v9, vcc, v0, v23
	buffer_load_dword v0, off, s[0:3], s32 offset:208 ; 4-byte Folded Reload
	s_waitcnt vmcnt(0)
	v_addc_co_u32_e32 v10, vcc, v0, v24, vcc
	buffer_store_dword v9, off, s[0:3], s32 offset:104 ; 4-byte Folded Spill
	s_nop 0
	buffer_store_dword v10, off, s[0:3], s32 offset:108 ; 4-byte Folded Spill
	s_branch .LBB0_255
.LBB0_254:                              ;   in Loop: Header=BB0_255 Depth=2
	s_or_b64 exec, exec, s[60:61]
	v_add_co_u32_e32 v34, vcc, 1, v34
	v_addc_co_u32_e32 v35, vcc, 0, v35, vcc
	s_add_i32 s48, s48, 1
	v_add_co_u32_e32 v46, vcc, 1, v46
	v_addc_co_u32_e32 v47, vcc, 0, v47, vcc
	s_cmp_eq_u32 s48, s20
	v_add_u16_e32 v49, 1, v49
	s_cbranch_scc1 .LBB0_735
.LBB0_255:                              ;   Parent Loop BB0_30 Depth=1
                                        ; =>  This Loop Header: Depth=2
                                        ;       Child Loop BB0_260 Depth 3
                                        ;       Child Loop BB0_279 Depth 3
	;; [unrolled: 1-line block ×3, first 2 shown]
                                        ;         Child Loop BB0_307 Depth 4
                                        ;       Child Loop BB0_723 Depth 3
                                        ;       Child Loop BB0_296 Depth 3
	s_sub_i32 s26, s20, s48
	s_lshl_b64 s[18:19], s[26:27], 2
	s_waitcnt lgkmcnt(0)
	v_mov_b32_e32 v0, s19
	v_add_co_u32_e32 v9, vcc, s18, v60
	v_addc_co_u32_e32 v10, vcc, v61, v0, vcc
	flat_load_dword v0, v[9:10]
	s_and_saveexec_b64 s[60:61], s[6:7]
	s_cbranch_execz .LBB0_271
; %bb.256:                              ;   in Loop: Header=BB0_255 Depth=2
	v_add_co_u32_e32 v17, vcc, 1, v15
	v_addc_co_u32_e32 v18, vcc, 0, v16, vcc
	v_add_co_u32_e32 v9, vcc, 8, v52
	v_addc_co_u32_e32 v10, vcc, 0, v53, vcc
	v_cmp_lt_u64_e32 vcc, v[9:10], v[17:18]
	s_and_saveexec_b64 s[62:63], vcc
	s_cbranch_execz .LBB0_268
; %bb.257:                              ;   in Loop: Header=BB0_255 Depth=2
	s_mov_b32 s26, 0
	v_cmp_eq_u32_e32 vcc, 0, v12
	s_mov_b64 s[72:73], 0
                                        ; implicit-def: $sgpr74_sgpr75
                                        ; implicit-def: $sgpr76_sgpr77
                                        ; implicit-def: $sgpr78_sgpr79
	s_branch .LBB0_260
.LBB0_258:                              ;   in Loop: Header=BB0_260 Depth=3
	s_or_b64 exec, exec, s[30:31]
	s_andn2_b64 s[18:19], s[78:79], exec
	s_and_b64 s[78:79], s[92:93], exec
	s_or_b64 s[78:79], s[18:19], s[78:79]
	s_andn2_b64 s[18:19], s[76:77], exec
	s_and_b64 s[76:77], s[90:91], exec
	s_or_b64 s[76:77], s[18:19], s[76:77]
.LBB0_259:                              ;   in Loop: Header=BB0_260 Depth=3
	s_or_b64 exec, exec, s[88:89]
	s_and_b64 s[18:19], exec, s[76:77]
	s_or_b64 s[72:73], s[18:19], s[72:73]
	s_andn2_b64 s[18:19], s[74:75], exec
	s_and_b64 s[74:75], s[78:79], exec
	s_or_b64 s[74:75], s[18:19], s[74:75]
	s_andn2_b64 exec, exec, s[72:73]
	s_cbranch_execz .LBB0_265
.LBB0_260:                              ;   Parent Loop BB0_30 Depth=1
                                        ;     Parent Loop BB0_255 Depth=2
                                        ; =>    This Inner Loop Header: Depth=3
	s_sleep 1
	s_waitcnt vmcnt(0) lgkmcnt(0)
	flat_load_dwordx2 v[52:53], v[50:51] glc
	v_mov_b32_e32 v12, 1
	s_or_b64 s[78:79], s[78:79], exec
	s_or_b64 s[76:77], s[76:77], exec
                                        ; implicit-def: $vgpr4
	s_and_saveexec_b64 s[88:89], vcc
	s_cbranch_execz .LBB0_259
; %bb.261:                              ;   in Loop: Header=BB0_260 Depth=3
	s_add_i32 s26, s26, 1
	s_cmpk_lg_i32 s26, 0x2710
	s_cselect_b64 s[94:95], -1, 0
	s_cmpk_eq_i32 s26, 0x2710
	s_mov_b64 s[90:91], -1
	s_mov_b64 s[92:93], -1
                                        ; implicit-def: $vgpr4
	s_cbranch_scc1 .LBB0_263
; %bb.262:                              ;   in Loop: Header=BB0_260 Depth=3
	v_mov_b32_e32 v12, 1
	s_and_saveexec_b64 s[30:31], s[94:95]
	s_cbranch_execz .LBB0_258
	s_branch .LBB0_264
.LBB0_263:                              ;   in Loop: Header=BB0_260 Depth=3
	s_trap 2
	s_waitcnt vmcnt(0) lgkmcnt(0)
	ds_read_b64 v[9:10], v0
	s_andn2_b64 s[94:95], s[94:95], exec
	s_mov_b32 s26, 0
	s_mov_b64 s[92:93], 0
	s_waitcnt lgkmcnt(0)
	flat_load_dword v4, v[9:10] glc
	s_waitcnt vmcnt(0) lgkmcnt(0)
	buffer_wbinvl1_vol
	v_cmp_eq_u32_e64 s[18:19], 0, v4
	s_and_b64 s[18:19], s[18:19], exec
	s_or_b64 s[94:95], s[94:95], s[18:19]
	v_mov_b32_e32 v12, 1
	s_and_saveexec_b64 s[30:31], s[94:95]
	s_cbranch_execz .LBB0_258
.LBB0_264:                              ;   in Loop: Header=BB0_260 Depth=3
	s_waitcnt vmcnt(0) lgkmcnt(0)
	v_add_co_u32_e64 v9, s[18:19], 8, v52
	v_addc_co_u32_e64 v10, s[18:19], 0, v53, s[18:19]
	v_cmp_ge_u64_e64 s[18:19], v[9:10], v[17:18]
	v_mov_b32_e32 v12, 0
	s_or_b64 s[92:93], s[92:93], exec
	s_orn2_b64 s[90:91], s[18:19], exec
	s_branch .LBB0_258
.LBB0_265:                              ;   in Loop: Header=BB0_255 Depth=2
	s_or_b64 exec, exec, s[72:73]
	s_xor_b64 s[18:19], s[74:75], -1
	s_and_saveexec_b64 s[72:73], s[18:19]
	s_xor_b64 s[18:19], exec, s[72:73]
	s_cbranch_execz .LBB0_267
; %bb.266:                              ;   in Loop: Header=BB0_255 Depth=2
	v_mov_b32_e32 v12, 1
	s_waitcnt vmcnt(0) lgkmcnt(0)
	ds_write_b32 v0, v4
	s_trap 2
.LBB0_267:                              ;   in Loop: Header=BB0_255 Depth=2
	s_or_b64 exec, exec, s[18:19]
.LBB0_268:                              ;   in Loop: Header=BB0_255 Depth=2
	s_or_b64 exec, exec, s[62:63]
	s_and_saveexec_b64 s[18:19], s[8:9]
	s_cbranch_execz .LBB0_270
; %bb.269:                              ;   in Loop: Header=BB0_255 Depth=2
	buffer_load_dword v11, off, s[0:3], s32 offset:112 ; 4-byte Folded Reload
	v_and_b32_e32 v40, 0x7ffffff8, v15
	v_and_b32_e32 v4, 7, v15
	v_mad_u64_u32 v[9:10], s[62:63], v4, 24, v[13:14]
	v_cmp_eq_u64_e32 vcc, s[44:45], v[40:41]
	v_mov_b32_e32 v4, s21
	s_waitcnt vmcnt(0)
	v_cndmask_b32_e32 v15, v11, v4, vcc
	v_ashrrev_i32_e32 v16, 31, v15
	flat_store_dwordx2 v[9:10], v[15:16] offset:8
	s_waitcnt vmcnt(0)
.LBB0_270:                              ;   in Loop: Header=BB0_255 Depth=2
	s_or_b64 exec, exec, s[18:19]
	v_mov_b32_e32 v15, v17
	v_mov_b32_e32 v16, v18
.LBB0_271:                              ;   in Loop: Header=BB0_255 Depth=2
	s_or_b64 exec, exec, s[60:61]
	s_and_saveexec_b64 s[18:19], s[10:11]
	s_cbranch_execz .LBB0_290
; %bb.272:                              ;   in Loop: Header=BB0_255 Depth=2
	s_and_saveexec_b64 s[60:61], s[40:41]
	s_xor_b64 s[60:61], exec, s[60:61]
	s_cbranch_execz .LBB0_287
; %bb.273:                              ;   in Loop: Header=BB0_255 Depth=2
	s_and_saveexec_b64 s[62:63], s[12:13]
	s_cbranch_execz .LBB0_286
; %bb.274:                              ;   in Loop: Header=BB0_255 Depth=2
	s_mov_b64 s[74:75], exec
	v_mbcnt_lo_u32_b32 v4, s74, 0
	v_mbcnt_hi_u32_b32 v4, s75, v4
	v_cmp_eq_u32_e32 vcc, 0, v4
	s_waitcnt vmcnt(0) lgkmcnt(0)
	buffer_wbinvl1_vol
	s_and_saveexec_b64 s[72:73], vcc
	s_cbranch_execz .LBB0_276
; %bb.275:                              ;   in Loop: Header=BB0_255 Depth=2
	s_bcnt1_i32_b64 s26, s[74:75]
	v_mov_b32_e32 v40, s26
	ds_add_u64 v0, v[40:41]
	s_trap 2
.LBB0_276:                              ;   in Loop: Header=BB0_255 Depth=2
	s_or_b64 exec, exec, s[72:73]
	s_trap 2
	ds_read_b64 v[9:10], v0
	s_waitcnt lgkmcnt(0)
	buffer_load_dword v4, off, s[0:3], s32 offset:116 ; 4-byte Folded Reload
	s_waitcnt vmcnt(0)
	v_add_co_u32_e32 v2, vcc, v2, v4
	v_addc_co_u32_e32 v3, vcc, 0, v3, vcc
	v_cmp_lt_u64_e32 vcc, v[9:10], v[2:3]
	s_and_saveexec_b64 s[72:73], vcc
	s_cbranch_execz .LBB0_285
; %bb.277:                              ;   in Loop: Header=BB0_255 Depth=2
	s_mov_b32 s26, 0
	s_mov_b64 s[74:75], 0
                                        ; implicit-def: $sgpr76_sgpr77
                                        ; implicit-def: $sgpr78_sgpr79
	s_branch .LBB0_279
.LBB0_278:                              ;   in Loop: Header=BB0_279 Depth=3
	s_or_b64 exec, exec, s[90:91]
	s_and_b64 s[88:89], exec, s[92:93]
	s_or_b64 s[74:75], s[88:89], s[74:75]
	s_andn2_b64 s[76:77], s[76:77], exec
	s_and_b64 s[88:89], s[78:79], exec
	s_or_b64 s[76:77], s[76:77], s[88:89]
	s_andn2_b64 exec, exec, s[74:75]
	s_cbranch_execz .LBB0_283
.LBB0_279:                              ;   Parent Loop BB0_30 Depth=1
                                        ;     Parent Loop BB0_255 Depth=2
                                        ; =>    This Inner Loop Header: Depth=3
	s_add_i32 s26, s26, 1
	s_cmpk_lg_i32 s26, 0x2710
	s_cselect_b64 s[88:89], -1, 0
	s_and_b64 vcc, exec, s[88:89]
	s_cbranch_vccz .LBB0_281
; %bb.280:                              ;   in Loop: Header=BB0_279 Depth=3
	s_mov_b64 s[92:93], -1
	s_or_b64 s[78:79], s[78:79], exec
	s_and_saveexec_b64 s[90:91], s[88:89]
	s_cbranch_execz .LBB0_278
	s_branch .LBB0_282
.LBB0_281:                              ;   in Loop: Header=BB0_279 Depth=3
	s_trap 2
	ds_read_b64 v[9:10], v0
	s_andn2_b64 s[88:89], s[88:89], exec
	s_mov_b32 s26, 0
	s_waitcnt lgkmcnt(0)
	flat_load_dword v4, v[9:10] glc
	s_waitcnt vmcnt(0) lgkmcnt(0)
	buffer_wbinvl1_vol
	v_cmp_eq_u32_e32 vcc, 0, v4
	s_and_b64 s[90:91], vcc, exec
	s_or_b64 s[88:89], s[88:89], s[90:91]
	s_mov_b64 s[92:93], -1
	s_or_b64 s[78:79], s[78:79], exec
	s_and_saveexec_b64 s[90:91], s[88:89]
	s_cbranch_execz .LBB0_278
.LBB0_282:                              ;   in Loop: Header=BB0_279 Depth=3
	s_sleep 1
	s_trap 2
	ds_read_b64 v[9:10], v0
	s_waitcnt lgkmcnt(0)
	s_andn2_b64 s[78:79], s[78:79], exec
	v_cmp_ge_u64_e32 vcc, v[9:10], v[2:3]
	s_orn2_b64 s[92:93], vcc, exec
	s_branch .LBB0_278
.LBB0_283:                              ;   in Loop: Header=BB0_255 Depth=2
	s_or_b64 exec, exec, s[74:75]
	s_and_saveexec_b64 s[74:75], s[76:77]
	s_xor_b64 s[74:75], exec, s[74:75]
	s_cbranch_execz .LBB0_285
; %bb.284:                              ;   in Loop: Header=BB0_255 Depth=2
	v_mov_b32_e32 v4, 1
	ds_write_b32 v0, v4
	s_trap 2
.LBB0_285:                              ;   in Loop: Header=BB0_255 Depth=2
	s_or_b64 exec, exec, s[72:73]
	;;#ASMSTART
	s_wakeup
	;;#ASMEND
.LBB0_286:                              ;   in Loop: Header=BB0_255 Depth=2
	s_or_b64 exec, exec, s[62:63]
.LBB0_287:                              ;   in Loop: Header=BB0_255 Depth=2
	s_andn2_saveexec_b64 s[60:61], s[60:61]
	s_cbranch_execz .LBB0_289
; %bb.288:                              ;   in Loop: Header=BB0_255 Depth=2
	s_waitcnt vmcnt(0) lgkmcnt(0)
	buffer_wbinvl1_vol
	s_barrier
.LBB0_289:                              ;   in Loop: Header=BB0_255 Depth=2
	s_or_b64 exec, exec, s[60:61]
.LBB0_290:                              ;   in Loop: Header=BB0_255 Depth=2
	s_or_b64 exec, exec, s[18:19]
	buffer_load_dword v58, off, s[0:3], s32 offset:60 ; 4-byte Folded Reload
	buffer_load_dword v59, off, s[0:3], s32 offset:64 ; 4-byte Folded Reload
	v_add_u32_e32 v18, 1, v46
	s_and_saveexec_b64 s[60:61], s[16:17]
	s_cbranch_execnz .LBB0_297
; %bb.291:                              ;   in Loop: Header=BB0_255 Depth=2
	s_or_b64 exec, exec, s[60:61]
	s_and_saveexec_b64 s[18:19], s[10:11]
	s_cbranch_execnz .LBB0_716
.LBB0_292:                              ;   in Loop: Header=BB0_255 Depth=2
	s_or_b64 exec, exec, s[18:19]
	s_and_saveexec_b64 s[18:19], s[14:15]
	s_cbranch_execz .LBB0_294
.LBB0_293:                              ;   in Loop: Header=BB0_255 Depth=2
	buffer_load_dword v9, off, s[0:3], s32 offset:88 ; 4-byte Folded Reload
	buffer_load_dword v10, off, s[0:3], s32 offset:92 ; 4-byte Folded Reload
	v_add_co_u32_e32 v38, vcc, 1, v38
	v_addc_co_u32_e32 v39, vcc, 0, v39, vcc
	s_waitcnt vmcnt(0)
	flat_store_dwordx2 v[9:10], v[38:39]
.LBB0_294:                              ;   in Loop: Header=BB0_255 Depth=2
	s_or_b64 exec, exec, s[18:19]
	v_and_b32_e32 v40, 0x7ffffff8, v46
	v_cmp_eq_u64_e32 vcc, s[44:45], v[40:41]
	s_waitcnt vmcnt(0)
	v_cmp_gt_i32_e64 s[18:19], s34, v58
	s_and_b64 s[18:19], vcc, s[18:19]
	s_and_saveexec_b64 s[60:61], s[18:19]
	s_cbranch_execz .LBB0_254
; %bb.295:                              ;   in Loop: Header=BB0_255 Depth=2
	s_waitcnt lgkmcnt(0)
	v_and_b32_e32 v0, 7, v49
	v_mul_lo_u32 v9, s34, v0
	v_ashrrev_i32_e32 v59, 31, v58
	v_lshlrev_b64 v[19:20], 4, v[58:59]
	v_mov_b32_e32 v17, v41
	v_ashrrev_i32_e32 v10, 31, v9
	v_lshlrev_b64 v[9:10], 4, v[9:10]
	s_mov_b64 s[62:63], 0
	v_add_co_u32_e32 v0, vcc, v19, v9
	v_addc_co_u32_e32 v4, vcc, v20, v10, vcc
	buffer_load_dword v9, off, s[0:3], s32 offset:68 ; 4-byte Folded Reload
	buffer_load_dword v10, off, s[0:3], s32 offset:72 ; 4-byte Folded Reload
	s_waitcnt vmcnt(1)
	v_add_co_u32_e32 v21, vcc, v9, v0
	s_waitcnt vmcnt(0)
	v_addc_co_u32_e32 v22, vcc, v10, v4, vcc
.LBB0_296:                              ;   Parent Loop BB0_30 Depth=1
                                        ;     Parent Loop BB0_255 Depth=2
                                        ; =>    This Inner Loop Header: Depth=3
	v_mov_b32_e32 v19, v17
	v_mov_b32_e32 v20, v18
	v_add_u32_e32 v58, v58, v1
	global_store_dwordx4 v[21:22], v[17:20], off
	v_add_co_u32_e32 v21, vcc, v21, v5
	v_cmp_le_i32_e64 s[18:19], s34, v58
	s_or_b64 s[62:63], s[18:19], s[62:63]
	v_addc_co_u32_e32 v22, vcc, v22, v6, vcc
	s_andn2_b64 exec, exec, s[62:63]
	s_cbranch_execnz .LBB0_296
	s_branch .LBB0_254
.LBB0_297:                              ;   in Loop: Header=BB0_255 Depth=2
	buffer_load_dword v9, off, s[0:3], s32 offset:80 ; 4-byte Folded Reload
	buffer_load_dword v10, off, s[0:3], s32 offset:104 ; 4-byte Folded Reload
	;; [unrolled: 1-line block ×3, first 2 shown]
	v_mov_b32_e32 v36, v60
	v_mov_b32_e32 v37, v61
	s_waitcnt vmcnt(0) lgkmcnt(0)
	v_ashrrev_i32_e32 v4, 31, v0
	s_mov_b64 s[62:63], 0
	v_mov_b32_e32 v33, v48
	v_mul_lo_u32 v4, v9, v4
	v_mad_u64_u32 v[60:61], s[18:19], v9, v0, v[10:11]
	buffer_load_dword v10, off, s[0:3], s32 offset:84 ; 4-byte Folded Reload
	buffer_load_dword v20, off, s[0:3], s32 offset:96 ; 4-byte Folded Reload
	buffer_load_dword v21, off, s[0:3], s32 offset:100 ; 4-byte Folded Reload
	v_and_b32_e32 v9, 7, v34
	v_mul_lo_u32 v9, v9, s34
	s_waitcnt vmcnt(2)
	v_mul_lo_u32 v0, v10, v0
	v_ashrrev_i32_e32 v10, 31, v9
	v_lshlrev_b64 v[9:10], 4, v[9:10]
	s_waitcnt vmcnt(1)
	v_add_co_u32_e32 v11, vcc, v20, v9
	s_waitcnt vmcnt(0)
	v_addc_co_u32_e32 v9, vcc, v21, v10, vcc
	buffer_load_dword v21, off, s[0:3], s32 offset:68 ; 4-byte Folded Reload
	buffer_load_dword v22, off, s[0:3], s32 offset:72 ; 4-byte Folded Reload
	;; [unrolled: 1-line block ×4, first 2 shown]
	v_add3_u32 v61, v0, v61, v4
	v_and_b32_e32 v0, 7, v46
	v_mul_lo_u32 v19, v0, s34
	v_add_u32_e32 v10, 1, v34
	v_ashrrev_i32_e32 v20, 31, v19
	v_lshlrev_b64 v[19:20], 4, v[19:20]
	s_waitcnt vmcnt(3)
	v_add_co_u32_e32 v26, vcc, v21, v19
	s_waitcnt vmcnt(2)
	v_addc_co_u32_e32 v32, vcc, v22, v20, vcc
	s_branch .LBB0_299
.LBB0_298:                              ;   in Loop: Header=BB0_299 Depth=3
	s_or_b64 exec, exec, s[18:19]
	v_add_co_u32_e32 v60, vcc, v60, v25
	v_lshlrev_b32_e32 v0, 8, v44
	v_lshlrev_b32_e32 v20, 16, v42
	v_addc_co_u32_e32 v61, vcc, 0, v61, vcc
	v_or3_b32 v0, v0, v17, v20
	v_lshlrev_b32_e32 v20, 8, v22
	v_lshlrev_b32_e32 v21, 16, v27
	v_or3_b32 v4, v20, v4, v21
	v_add_co_u32_e32 v21, vcc, v26, v29
	v_addc_co_u32_e32 v22, vcc, v32, v30, vcc
	v_sub_u32_e32 v33, v33, v25
	v_lshlrev_b32_e32 v17, 24, v43
	v_lshlrev_b32_e32 v19, 24, v19
	v_cmp_gt_i32_e32 vcc, 1, v33
	v_or3_b32 v17, v0, v17, 0
	v_or3_b32 v19, v4, v19, 0
	v_mov_b32_e32 v20, v18
	s_or_b64 s[62:63], vcc, s[62:63]
	v_add_u32_e32 v58, v58, v1
	global_store_dwordx4 v[21:22], v[17:20], off
	s_andn2_b64 exec, exec, s[62:63]
	s_cbranch_execz .LBB0_715
.LBB0_299:                              ;   Parent Loop BB0_30 Depth=1
                                        ;     Parent Loop BB0_255 Depth=2
                                        ; =>    This Loop Header: Depth=3
                                        ;         Child Loop BB0_307 Depth 4
	v_and_b32_e32 v19, -4, v60
	v_mov_b32_e32 v20, v61
	global_load_dword v0, v[19:20], off glc slc
	v_min_u32_e32 v4, 8, v33
	v_and_b32_e32 v17, 3, v60
	v_add_u32_e32 v40, v17, v4
	v_cmp_lt_u32_e32 vcc, 4, v40
	v_mov_b32_e32 v31, 0
	v_mov_b32_e32 v45, 0
	s_and_saveexec_b64 s[18:19], vcc
	s_cbranch_execz .LBB0_301
; %bb.300:                              ;   in Loop: Header=BB0_299 Depth=3
	global_load_dword v45, v[19:20], off offset:4 glc slc
.LBB0_301:                              ;   in Loop: Header=BB0_299 Depth=3
	s_or_b64 exec, exec, s[18:19]
	v_cmp_lt_u64_e32 vcc, 8, v[40:41]
	s_and_saveexec_b64 s[18:19], vcc
	s_cbranch_execz .LBB0_303
; %bb.302:                              ;   in Loop: Header=BB0_299 Depth=3
	global_load_dword v31, v[19:20], off offset:8 glc slc
.LBB0_303:                              ;   in Loop: Header=BB0_299 Depth=3
	s_or_b64 exec, exec, s[18:19]
	s_waitcnt vmcnt(1)
	v_mov_b32_e32 v59, v41
	v_lshlrev_b64 v[29:30], 4, v[58:59]
	v_add_co_u32_e32 v27, vcc, v11, v29
	v_addc_co_u32_e32 v28, vcc, v9, v30, vcc
	global_load_dwordx4 v[19:22], v[27:28], off glc slc
	v_cmp_eq_u32_e32 vcc, 0, v12
	v_mov_b32_e32 v12, 1
	s_and_saveexec_b64 s[72:73], vcc
	s_cbranch_execz .LBB0_315
; %bb.304:                              ;   in Loop: Header=BB0_299 Depth=3
	s_waitcnt vmcnt(0)
	v_cmp_ne_u32_e32 vcc, v10, v20
	v_cmp_ne_u32_e64 s[18:19], v10, v22
	s_or_b64 s[18:19], vcc, s[18:19]
	v_mov_b32_e32 v12, 0
	s_and_saveexec_b64 s[74:75], s[18:19]
	s_cbranch_execz .LBB0_314
; %bb.305:                              ;   in Loop: Header=BB0_299 Depth=3
	s_mov_b32 s26, 1
	s_mov_b64 s[78:79], 0
                                        ; implicit-def: $sgpr76_sgpr77
                                        ; implicit-def: $sgpr88_sgpr89
	s_branch .LBB0_307
.LBB0_306:                              ;   in Loop: Header=BB0_307 Depth=4
	s_or_b64 exec, exec, s[92:93]
	s_and_b64 s[18:19], exec, s[18:19]
	s_or_b64 s[78:79], s[18:19], s[78:79]
	s_andn2_b64 s[18:19], s[76:77], exec
	s_and_b64 s[76:77], s[88:89], exec
	s_or_b64 s[76:77], s[18:19], s[76:77]
	s_andn2_b64 exec, exec, s[78:79]
	s_cbranch_execz .LBB0_311
.LBB0_307:                              ;   Parent Loop BB0_30 Depth=1
                                        ;     Parent Loop BB0_255 Depth=2
                                        ;       Parent Loop BB0_299 Depth=3
                                        ; =>      This Inner Loop Header: Depth=4
	global_load_dwordx4 v[19:22], v[27:28], off glc slc
	s_add_i32 s26, s26, 1
	s_mov_b64 s[18:19], -1
	s_cmpk_lg_i32 s26, 0x2710
	s_mov_b64 s[90:91], -1
                                        ; implicit-def: $vgpr4
	s_cbranch_scc0 .LBB0_309
; %bb.308:                              ;   in Loop: Header=BB0_307 Depth=4
	s_or_b64 s[88:89], s[88:89], exec
	s_and_saveexec_b64 s[92:93], s[90:91]
	s_cbranch_execz .LBB0_306
	s_branch .LBB0_310
.LBB0_309:                              ;   in Loop: Header=BB0_307 Depth=4
	s_trap 2
	ds_read_b64 v[23:24], v0
	s_mov_b32 s26, 0
	s_waitcnt vmcnt(0) lgkmcnt(0)
	flat_load_dword v4, v[23:24] glc
	s_waitcnt vmcnt(0) lgkmcnt(0)
	buffer_wbinvl1_vol
	v_cmp_eq_u32_e32 vcc, 0, v4
	s_orn2_b64 s[90:91], vcc, exec
	s_or_b64 s[88:89], s[88:89], exec
	s_and_saveexec_b64 s[92:93], s[90:91]
	s_cbranch_execz .LBB0_306
.LBB0_310:                              ;   in Loop: Header=BB0_307 Depth=4
	s_waitcnt vmcnt(0)
	v_cmp_eq_u32_e32 vcc, v10, v20
	v_cmp_eq_u32_e64 s[18:19], v10, v22
	s_and_b64 s[18:19], vcc, s[18:19]
	s_andn2_b64 s[88:89], s[88:89], exec
	s_orn2_b64 s[18:19], s[18:19], exec
	s_branch .LBB0_306
.LBB0_311:                              ;   in Loop: Header=BB0_299 Depth=3
	s_or_b64 exec, exec, s[78:79]
	v_mov_b32_e32 v12, 0
	s_and_saveexec_b64 s[18:19], s[76:77]
	s_xor_b64 s[18:19], exec, s[18:19]
	s_cbranch_execz .LBB0_313
; %bb.312:                              ;   in Loop: Header=BB0_299 Depth=3
	v_mov_b32_e32 v12, 1
	ds_write_b32 v0, v4
	s_trap 2
.LBB0_313:                              ;   in Loop: Header=BB0_299 Depth=3
	s_or_b64 exec, exec, s[18:19]
.LBB0_314:                              ;   in Loop: Header=BB0_299 Depth=3
	s_or_b64 exec, exec, s[74:75]
.LBB0_315:                              ;   in Loop: Header=BB0_299 Depth=3
	s_or_b64 exec, exec, s[72:73]
	v_lshlrev_b32_e32 v57, 3, v60
	s_waitcnt vmcnt(1)
	v_alignbit_b32 v40, v45, v0, v57
	v_cmp_ne_u16_sdwa s[72:73], v40, v41 src0_sel:BYTE_0 src1_sel:DWORD
	v_mov_b32_e32 v0, 0
	s_and_saveexec_b64 s[18:19], s[72:73]
	s_cbranch_execz .LBB0_321
; %bb.316:                              ;   in Loop: Header=BB0_299 Depth=3
	v_cmp_ne_u16_sdwa s[74:75], v40, s36 src0_sel:BYTE_0 src1_sel:DWORD
	v_bfrev_b32_e32 v0, 1
	s_and_saveexec_b64 s[72:73], s[74:75]
	s_cbranch_execz .LBB0_320
; %bb.317:                              ;   in Loop: Header=BB0_299 Depth=3
	v_and_b32_e32 v4, 0x7f, v40
	v_cmp_ne_u32_e32 vcc, s37, v4
	v_mov_b32_e32 v0, 0x7f800001
	s_and_saveexec_b64 s[74:75], vcc
	s_cbranch_execz .LBB0_319
; %bb.318:                              ;   in Loop: Header=BB0_299 Depth=3
	v_and_b32_e32 v0, 7, v40
	v_ffbh_u32_e32 v0, v0
	v_min_u32_e32 v0, 32, v0
	v_lshrrev_b32_e32 v17, 3, v4
	v_cmp_gt_u32_e32 vcc, 8, v4
	v_subrev_u32_e32 v4, 28, v0
	v_cndmask_b32_e32 v4, 0, v4, vcc
	v_lshlrev_b64 v[23:24], v4, v[40:41]
	v_sub_u32_e32 v0, 29, v0
	v_cndmask_b32_e32 v0, v17, v0, vcc
	v_lshlrev_b32_e32 v4, 20, v23
	v_lshlrev_b32_e32 v17, 24, v40
	v_and_b32_e32 v4, 0x700000, v4
	v_and_b32_e32 v17, 0x80000000, v17
	v_lshl_add_u32 v0, v0, 23, v7
	v_or3_b32 v0, v17, v0, v4
.LBB0_319:                              ;   in Loop: Header=BB0_299 Depth=3
	s_or_b64 exec, exec, s[74:75]
.LBB0_320:                              ;   in Loop: Header=BB0_299 Depth=3
	s_or_b64 exec, exec, s[72:73]
.LBB0_321:                              ;   in Loop: Header=BB0_299 Depth=3
	s_or_b64 exec, exec, s[18:19]
	v_mul_f32_e32 v4, v62, v0
	v_and_b32_e32 v23, 0x7f800000, v4
	v_mov_b32_e32 v24, v41
	v_cmp_ne_u64_e32 vcc, s[46:47], v[23:24]
                                        ; implicit-def: $vgpr17
	s_and_saveexec_b64 s[18:19], vcc
	s_xor_b64 s[72:73], exec, s[18:19]
	s_cbranch_execz .LBB0_335
; %bb.322:                              ;   in Loop: Header=BB0_299 Depth=3
	v_and_b32_e32 v23, 0x7fffffff, v4
	v_mov_b32_e32 v24, v41
	v_cmp_gt_u64_e32 vcc, s[56:57], v[23:24]
	v_and_b32_sdwa v0, v4, s36 dst_sel:DWORD dst_unused:UNUSED_PAD src0_sel:BYTE_3 src1_sel:DWORD
                                        ; implicit-def: $vgpr17
	s_and_saveexec_b64 s[18:19], vcc
	s_xor_b64 s[74:75], exec, s[18:19]
	s_cbranch_execz .LBB0_332
; %bb.323:                              ;   in Loop: Header=BB0_299 Depth=3
	v_mov_b32_e32 v17, 0
	v_cmp_ne_u32_e32 vcc, 0, v4
	s_and_saveexec_b64 s[76:77], vcc
	s_cbranch_execz .LBB0_331
; %bb.324:                              ;   in Loop: Header=BB0_299 Depth=3
	v_and_b32_e32 v23, 0x7fffff, v4
	v_bfe_u32 v4, v4, 23, 8
	v_cmp_gt_u32_e64 s[18:19], s38, v4
	v_sub_u32_e32 v17, 0x79, v4
	v_cmp_eq_u32_e32 vcc, 0, v4
	v_cndmask_b32_e64 v17, 0, v17, s[18:19]
	v_cndmask_b32_e32 v17, v17, v8, vcc
	v_add_u32_e32 v27, 20, v17
	v_or_b32_e32 v24, 0x800000, v23
	v_lshlrev_b64 v[27:28], v27, -1
	v_add_u32_e32 v42, 19, v17
	v_cndmask_b32_e32 v23, v24, v23, vcc
	v_lshlrev_b64 v[42:43], v42, 1
	v_mov_b32_e32 v24, v41
	v_bfi_b32 v28, v28, 0, 0
	v_bfi_b32 v27, v27, 0, v23
	v_cmp_eq_u64_e64 s[18:19], v[27:28], v[42:43]
	v_lshrrev_b64 v[27:28], v17, v[23:24]
	v_mov_b32_e32 v43, v28
	v_mov_b32_e32 v42, v27
	s_and_saveexec_b64 s[78:79], s[18:19]
; %bb.325:                              ;   in Loop: Header=BB0_299 Depth=3
	v_bfe_u32 v23, v27, 20, 1
	v_add_co_u32_e64 v23, s[18:19], v27, v23
	v_add_co_u32_e64 v42, s[18:19], -1, v23
; %bb.326:                              ;   in Loop: Header=BB0_299 Depth=3
	s_or_b64 exec, exec, s[78:79]
	v_add_u32_e32 v4, 0xffffff81, v4
	v_cndmask_b32_e32 v4, v4, v54, vcc
	v_lshrrev_b32_e32 v23, 23, v27
	v_add3_u32 v23, v17, v4, v23
	v_add_u32_e32 v17, 6, v23
	v_and_b32_e32 v4, 0xfffff, v42
	v_add_u32_e32 v27, v4, v27
	v_mov_b32_e32 v28, v41
	v_cmp_ne_u32_e32 vcc, 0, v17
                                        ; implicit-def: $vgpr4
	s_and_saveexec_b64 s[18:19], vcc
	s_xor_b64 s[18:19], exec, s[18:19]
; %bb.327:                              ;   in Loop: Header=BB0_299 Depth=3
	v_cmp_lt_u64_e32 vcc, s[58:59], v[27:28]
	v_add_u32_e32 v4, 7, v23
	v_cndmask_b32_e32 v4, v17, v4, vcc
	v_cndmask_b32_e64 v17, 0, 1, vcc
	v_lshrrev_b64 v[27:28], v17, v[27:28]
; %bb.328:                              ;   in Loop: Header=BB0_299 Depth=3
	s_andn2_saveexec_b64 s[18:19], s[18:19]
; %bb.329:                              ;   in Loop: Header=BB0_299 Depth=3
	v_bfe_u32 v4, v27, 23, 1
; %bb.330:                              ;   in Loop: Header=BB0_299 Depth=3
	s_or_b64 exec, exec, s[18:19]
	v_lshrrev_b64 v[23:24], 20, v[27:28]
	v_cmp_gt_i32_e32 vcc, 16, v4
	v_cndmask_b32_e32 v24, 0, v24, vcc
	v_cndmask_b32_e32 v23, 7, v23, vcc
	v_cmp_eq_u32_e32 vcc, 0, v4
	v_min_i32_e32 v4, 15, v4
	v_cmp_eq_u64_e64 s[18:19], 0, v[23:24]
	v_lshlrev_b32_e32 v4, 3, v4
	v_and_b32_e32 v4, 0xf8, v4
	v_and_or_b32 v4, v23, 7, v4
	s_and_b64 s[18:19], vcc, s[18:19]
	v_cndmask_b32_e64 v4, v4, 0, s[18:19]
	v_or_b32_e32 v17, v4, v0
.LBB0_331:                              ;   in Loop: Header=BB0_299 Depth=3
	s_or_b64 exec, exec, s[76:77]
                                        ; implicit-def: $vgpr0
.LBB0_332:                              ;   in Loop: Header=BB0_299 Depth=3
	s_andn2_saveexec_b64 s[18:19], s[74:75]
; %bb.333:                              ;   in Loop: Header=BB0_299 Depth=3
	v_or_b32_e32 v17, 0x7e, v0
; %bb.334:                              ;   in Loop: Header=BB0_299 Depth=3
	s_or_b64 exec, exec, s[18:19]
                                        ; implicit-def: $vgpr4
.LBB0_335:                              ;   in Loop: Header=BB0_299 Depth=3
	s_andn2_saveexec_b64 s[18:19], s[72:73]
; %bb.336:                              ;   in Loop: Header=BB0_299 Depth=3
	v_or_b32_sdwa v17, v4, s37 dst_sel:DWORD dst_unused:UNUSED_PAD src0_sel:BYTE_3 src1_sel:DWORD
; %bb.337:                              ;   in Loop: Header=BB0_299 Depth=3
	s_or_b64 exec, exec, s[18:19]
	v_lshrrev_b16_e32 v0, 8, v40
	v_cmp_ne_u16_e32 vcc, 0, v0
	v_mov_b32_e32 v4, 0
	s_and_saveexec_b64 s[18:19], vcc
	s_cbranch_execz .LBB0_343
; %bb.338:                              ;   in Loop: Header=BB0_299 Depth=3
	v_cmp_ne_u16_e32 vcc, s36, v0
	v_bfrev_b32_e32 v4, 1
	s_and_saveexec_b64 s[72:73], vcc
	s_cbranch_execz .LBB0_342
; %bb.339:                              ;   in Loop: Header=BB0_299 Depth=3
	v_and_b32_e32 v23, 0x7f, v0
	v_cmp_ne_u32_e32 vcc, s37, v23
	v_mov_b32_e32 v4, 0x7f800001
	s_and_saveexec_b64 s[74:75], vcc
	s_cbranch_execz .LBB0_341
; %bb.340:                              ;   in Loop: Header=BB0_299 Depth=3
	v_and_b32_e32 v4, 7, v0
	v_lshrrev_b32_e32 v27, 3, v23
	v_cmp_gt_u32_e32 vcc, 8, v23
	v_ffbh_u32_e32 v23, v4
	v_min_u32_e32 v28, 32, v23
	v_subrev_u32_e32 v23, 28, v28
	v_lshlrev_b64 v[23:24], v23, v[0:1]
	v_sub_u32_e32 v0, 29, v28
	v_and_b32_e32 v23, 7, v23
	v_cndmask_b32_e32 v0, v27, v0, vcc
	v_cndmask_b32_e32 v4, v4, v23, vcc
	v_lshlrev_b32_e32 v23, 16, v40
	v_lshlrev_b32_e32 v4, 20, v4
	v_and_b32_e32 v23, 0x80000000, v23
	v_lshl_add_u32 v0, v0, 23, v7
	v_or3_b32 v4, v23, v0, v4
.LBB0_341:                              ;   in Loop: Header=BB0_299 Depth=3
	s_or_b64 exec, exec, s[74:75]
.LBB0_342:                              ;   in Loop: Header=BB0_299 Depth=3
	s_or_b64 exec, exec, s[72:73]
.LBB0_343:                              ;   in Loop: Header=BB0_299 Depth=3
	s_or_b64 exec, exec, s[18:19]
	v_mul_f32_e32 v4, v62, v4
	v_and_b32_e32 v23, 0x7f800000, v4
	v_mov_b32_e32 v24, v41
	v_cmp_ne_u64_e32 vcc, s[46:47], v[23:24]
                                        ; implicit-def: $vgpr44
	s_and_saveexec_b64 s[18:19], vcc
	s_xor_b64 s[72:73], exec, s[18:19]
	s_cbranch_execz .LBB0_357
; %bb.344:                              ;   in Loop: Header=BB0_299 Depth=3
	v_and_b32_e32 v23, 0x7fffffff, v4
	v_mov_b32_e32 v24, v41
	v_cmp_gt_u64_e32 vcc, s[56:57], v[23:24]
	v_and_b32_sdwa v0, v4, s36 dst_sel:DWORD dst_unused:UNUSED_PAD src0_sel:BYTE_3 src1_sel:DWORD
                                        ; implicit-def: $vgpr44
	s_and_saveexec_b64 s[18:19], vcc
	s_xor_b64 s[74:75], exec, s[18:19]
	s_cbranch_execz .LBB0_354
; %bb.345:                              ;   in Loop: Header=BB0_299 Depth=3
	v_mov_b32_e32 v44, 0
	v_cmp_ne_u32_e32 vcc, 0, v4
	s_and_saveexec_b64 s[76:77], vcc
	s_cbranch_execz .LBB0_353
; %bb.346:                              ;   in Loop: Header=BB0_299 Depth=3
	v_and_b32_e32 v23, 0x7fffff, v4
	v_bfe_u32 v4, v4, 23, 8
	v_cmp_gt_u32_e64 s[18:19], s38, v4
	v_sub_u32_e32 v24, 0x79, v4
	v_cmp_eq_u32_e32 vcc, 0, v4
	v_cndmask_b32_e64 v24, 0, v24, s[18:19]
	v_or_b32_e32 v27, 0x800000, v23
	v_cndmask_b32_e32 v44, v24, v8, vcc
	v_cndmask_b32_e32 v23, v27, v23, vcc
	v_add_u32_e32 v27, 20, v44
	v_lshlrev_b64 v[27:28], v27, -1
	v_add_u32_e32 v42, 19, v44
	v_lshlrev_b64 v[42:43], v42, 1
	v_mov_b32_e32 v24, v41
	v_bfi_b32 v28, v28, 0, 0
	v_bfi_b32 v27, v27, 0, v23
	v_cmp_eq_u64_e64 s[18:19], v[27:28], v[42:43]
	v_lshrrev_b64 v[27:28], v44, v[23:24]
	v_mov_b32_e32 v43, v28
	v_mov_b32_e32 v42, v27
	s_and_saveexec_b64 s[78:79], s[18:19]
; %bb.347:                              ;   in Loop: Header=BB0_299 Depth=3
	v_bfe_u32 v23, v27, 20, 1
	v_add_co_u32_e64 v23, s[18:19], v27, v23
	v_add_co_u32_e64 v42, s[18:19], -1, v23
; %bb.348:                              ;   in Loop: Header=BB0_299 Depth=3
	s_or_b64 exec, exec, s[78:79]
	v_add_u32_e32 v4, 0xffffff81, v4
	v_cndmask_b32_e32 v4, v4, v54, vcc
	v_lshrrev_b32_e32 v23, 23, v27
	v_add3_u32 v24, v44, v4, v23
	v_add_u32_e32 v23, 6, v24
	v_and_b32_e32 v4, 0xfffff, v42
	v_add_u32_e32 v27, v4, v27
	v_mov_b32_e32 v28, v41
	v_cmp_ne_u32_e32 vcc, 0, v23
                                        ; implicit-def: $vgpr4
	s_and_saveexec_b64 s[18:19], vcc
	s_xor_b64 s[18:19], exec, s[18:19]
; %bb.349:                              ;   in Loop: Header=BB0_299 Depth=3
	v_cmp_lt_u64_e32 vcc, s[58:59], v[27:28]
	v_add_u32_e32 v4, 7, v24
	v_cndmask_b32_e32 v4, v23, v4, vcc
	v_cndmask_b32_e64 v23, 0, 1, vcc
	v_lshrrev_b64 v[27:28], v23, v[27:28]
; %bb.350:                              ;   in Loop: Header=BB0_299 Depth=3
	s_andn2_saveexec_b64 s[18:19], s[18:19]
; %bb.351:                              ;   in Loop: Header=BB0_299 Depth=3
	v_bfe_u32 v4, v27, 23, 1
; %bb.352:                              ;   in Loop: Header=BB0_299 Depth=3
	s_or_b64 exec, exec, s[18:19]
	v_lshrrev_b64 v[23:24], 20, v[27:28]
	v_cmp_gt_i32_e32 vcc, 16, v4
	v_cndmask_b32_e32 v24, 0, v24, vcc
	v_cndmask_b32_e32 v23, 7, v23, vcc
	v_cmp_eq_u32_e32 vcc, 0, v4
	v_min_i32_e32 v4, 15, v4
	v_cmp_eq_u64_e64 s[18:19], 0, v[23:24]
	v_lshlrev_b32_e32 v4, 3, v4
	v_and_b32_e32 v4, 0xf8, v4
	v_and_or_b32 v4, v23, 7, v4
	s_and_b64 s[18:19], vcc, s[18:19]
	v_cndmask_b32_e64 v4, v4, 0, s[18:19]
	v_or_b32_e32 v44, v4, v0
.LBB0_353:                              ;   in Loop: Header=BB0_299 Depth=3
	s_or_b64 exec, exec, s[76:77]
                                        ; implicit-def: $vgpr0
.LBB0_354:                              ;   in Loop: Header=BB0_299 Depth=3
	s_andn2_saveexec_b64 s[18:19], s[74:75]
; %bb.355:                              ;   in Loop: Header=BB0_299 Depth=3
	v_or_b32_e32 v44, 0x7e, v0
; %bb.356:                              ;   in Loop: Header=BB0_299 Depth=3
	s_or_b64 exec, exec, s[18:19]
                                        ; implicit-def: $vgpr4
.LBB0_357:                              ;   in Loop: Header=BB0_299 Depth=3
	s_andn2_saveexec_b64 s[18:19], s[72:73]
; %bb.358:                              ;   in Loop: Header=BB0_299 Depth=3
	v_or_b32_sdwa v44, v4, s37 dst_sel:DWORD dst_unused:UNUSED_PAD src0_sel:BYTE_3 src1_sel:DWORD
; %bb.359:                              ;   in Loop: Header=BB0_299 Depth=3
	s_or_b64 exec, exec, s[18:19]
	v_and_b32_sdwa v23, v40, s35 dst_sel:DWORD dst_unused:UNUSED_PAD src0_sel:WORD_1 src1_sel:DWORD
	v_lshrrev_b32_e32 v0, 16, v40
	v_cmp_ne_u16_e32 vcc, 0, v23
	v_mov_b32_e32 v4, 0
	s_and_saveexec_b64 s[18:19], vcc
	s_cbranch_execz .LBB0_365
; %bb.360:                              ;   in Loop: Header=BB0_299 Depth=3
	v_cmp_ne_u16_e32 vcc, s36, v23
	v_bfrev_b32_e32 v4, 1
	s_and_saveexec_b64 s[72:73], vcc
	s_cbranch_execz .LBB0_364
; %bb.361:                              ;   in Loop: Header=BB0_299 Depth=3
	v_bfe_u32 v23, v40, 16, 7
	v_cmp_ne_u32_e32 vcc, s37, v23
	v_mov_b32_e32 v4, 0x7f800001
	s_and_saveexec_b64 s[74:75], vcc
	s_cbranch_execz .LBB0_363
; %bb.362:                              ;   in Loop: Header=BB0_299 Depth=3
	v_and_b32_e32 v4, 7, v0
	v_lshrrev_b32_e32 v27, 3, v23
	v_cmp_gt_u32_e32 vcc, 8, v23
	v_ffbh_u32_e32 v23, v4
	v_min_u32_e32 v28, 32, v23
	v_subrev_u32_e32 v23, 28, v28
	v_lshlrev_b64 v[23:24], v23, v[0:1]
	v_sub_u32_e32 v0, 29, v28
	v_and_b32_e32 v23, 7, v23
	v_cndmask_b32_e32 v0, v27, v0, vcc
	v_cndmask_b32_e32 v4, v4, v23, vcc
	v_lshlrev_b32_sdwa v23, v55, v40 dst_sel:DWORD dst_unused:UNUSED_PAD src0_sel:DWORD src1_sel:WORD_1
	v_lshlrev_b32_e32 v4, 20, v4
	v_and_b32_e32 v23, 0x80000000, v23
	v_lshl_add_u32 v0, v0, 23, v7
	v_or3_b32 v4, v23, v0, v4
.LBB0_363:                              ;   in Loop: Header=BB0_299 Depth=3
	s_or_b64 exec, exec, s[74:75]
.LBB0_364:                              ;   in Loop: Header=BB0_299 Depth=3
	s_or_b64 exec, exec, s[72:73]
.LBB0_365:                              ;   in Loop: Header=BB0_299 Depth=3
	s_or_b64 exec, exec, s[18:19]
	v_mul_f32_e32 v4, v62, v4
	v_and_b32_e32 v23, 0x7f800000, v4
	v_mov_b32_e32 v24, v41
	v_cmp_ne_u64_e32 vcc, s[46:47], v[23:24]
                                        ; implicit-def: $vgpr56
	s_and_saveexec_b64 s[18:19], vcc
	s_xor_b64 s[72:73], exec, s[18:19]
	s_cbranch_execz .LBB0_379
; %bb.366:                              ;   in Loop: Header=BB0_299 Depth=3
	v_and_b32_e32 v23, 0x7fffffff, v4
	v_mov_b32_e32 v24, v41
	v_cmp_gt_u64_e32 vcc, s[56:57], v[23:24]
	v_and_b32_sdwa v0, v4, s36 dst_sel:DWORD dst_unused:UNUSED_PAD src0_sel:BYTE_3 src1_sel:DWORD
                                        ; implicit-def: $vgpr56
	s_and_saveexec_b64 s[18:19], vcc
	s_xor_b64 s[74:75], exec, s[18:19]
	s_cbranch_execz .LBB0_376
; %bb.367:                              ;   in Loop: Header=BB0_299 Depth=3
	v_mov_b32_e32 v56, 0
	v_cmp_ne_u32_e32 vcc, 0, v4
	s_and_saveexec_b64 s[76:77], vcc
	s_cbranch_execz .LBB0_375
; %bb.368:                              ;   in Loop: Header=BB0_299 Depth=3
	v_and_b32_e32 v23, 0x7fffff, v4
	v_bfe_u32 v4, v4, 23, 8
	v_cmp_gt_u32_e64 s[18:19], s38, v4
	v_sub_u32_e32 v24, 0x79, v4
	v_cmp_eq_u32_e32 vcc, 0, v4
	v_cndmask_b32_e64 v24, 0, v24, s[18:19]
	v_or_b32_e32 v27, 0x800000, v23
	v_cndmask_b32_e32 v56, v24, v8, vcc
	v_cndmask_b32_e32 v23, v27, v23, vcc
	v_add_u32_e32 v27, 20, v56
	v_lshlrev_b64 v[27:28], v27, -1
	v_add_u32_e32 v42, 19, v56
	v_lshlrev_b64 v[42:43], v42, 1
	v_mov_b32_e32 v24, v41
	v_bfi_b32 v28, v28, 0, 0
	v_bfi_b32 v27, v27, 0, v23
	v_cmp_eq_u64_e64 s[18:19], v[27:28], v[42:43]
	v_lshrrev_b64 v[27:28], v56, v[23:24]
	v_mov_b32_e32 v43, v28
	v_mov_b32_e32 v42, v27
	s_and_saveexec_b64 s[78:79], s[18:19]
; %bb.369:                              ;   in Loop: Header=BB0_299 Depth=3
	v_bfe_u32 v23, v27, 20, 1
	v_add_co_u32_e64 v23, s[18:19], v27, v23
	v_add_co_u32_e64 v42, s[18:19], -1, v23
; %bb.370:                              ;   in Loop: Header=BB0_299 Depth=3
	s_or_b64 exec, exec, s[78:79]
	v_add_u32_e32 v4, 0xffffff81, v4
	v_cndmask_b32_e32 v4, v4, v54, vcc
	v_lshrrev_b32_e32 v23, 23, v27
	v_add3_u32 v24, v56, v4, v23
	v_add_u32_e32 v23, 6, v24
	v_and_b32_e32 v4, 0xfffff, v42
	v_add_u32_e32 v27, v4, v27
	v_mov_b32_e32 v28, v41
	v_cmp_ne_u32_e32 vcc, 0, v23
                                        ; implicit-def: $vgpr4
	s_and_saveexec_b64 s[18:19], vcc
	s_xor_b64 s[18:19], exec, s[18:19]
; %bb.371:                              ;   in Loop: Header=BB0_299 Depth=3
	v_cmp_lt_u64_e32 vcc, s[58:59], v[27:28]
	v_add_u32_e32 v4, 7, v24
	v_cndmask_b32_e32 v4, v23, v4, vcc
	v_cndmask_b32_e64 v23, 0, 1, vcc
	v_lshrrev_b64 v[27:28], v23, v[27:28]
; %bb.372:                              ;   in Loop: Header=BB0_299 Depth=3
	s_andn2_saveexec_b64 s[18:19], s[18:19]
; %bb.373:                              ;   in Loop: Header=BB0_299 Depth=3
	v_bfe_u32 v4, v27, 23, 1
; %bb.374:                              ;   in Loop: Header=BB0_299 Depth=3
	s_or_b64 exec, exec, s[18:19]
	v_lshrrev_b64 v[23:24], 20, v[27:28]
	v_cmp_gt_i32_e32 vcc, 16, v4
	v_cndmask_b32_e32 v24, 0, v24, vcc
	v_cndmask_b32_e32 v23, 7, v23, vcc
	v_cmp_eq_u32_e32 vcc, 0, v4
	v_min_i32_e32 v4, 15, v4
	v_cmp_eq_u64_e64 s[18:19], 0, v[23:24]
	v_lshlrev_b32_e32 v4, 3, v4
	v_and_b32_e32 v4, 0xf8, v4
	v_and_or_b32 v4, v23, 7, v4
	s_and_b64 s[18:19], vcc, s[18:19]
	v_cndmask_b32_e64 v4, v4, 0, s[18:19]
	v_or_b32_e32 v56, v4, v0
.LBB0_375:                              ;   in Loop: Header=BB0_299 Depth=3
	s_or_b64 exec, exec, s[76:77]
                                        ; implicit-def: $vgpr0
.LBB0_376:                              ;   in Loop: Header=BB0_299 Depth=3
	s_andn2_saveexec_b64 s[18:19], s[74:75]
; %bb.377:                              ;   in Loop: Header=BB0_299 Depth=3
	v_or_b32_e32 v56, 0x7e, v0
; %bb.378:                              ;   in Loop: Header=BB0_299 Depth=3
	s_or_b64 exec, exec, s[18:19]
                                        ; implicit-def: $vgpr4
.LBB0_379:                              ;   in Loop: Header=BB0_299 Depth=3
	s_andn2_saveexec_b64 s[18:19], s[72:73]
; %bb.380:                              ;   in Loop: Header=BB0_299 Depth=3
	v_or_b32_sdwa v56, v4, s37 dst_sel:DWORD dst_unused:UNUSED_PAD src0_sel:BYTE_3 src1_sel:DWORD
; %bb.381:                              ;   in Loop: Header=BB0_299 Depth=3
	s_or_b64 exec, exec, s[18:19]
	v_cmp_lt_u32_e32 vcc, s39, v40
	v_mov_b32_e32 v4, 0
	s_and_saveexec_b64 s[18:19], vcc
	s_cbranch_execz .LBB0_387
; %bb.382:                              ;   in Loop: Header=BB0_299 Depth=3
	v_lshrrev_b32_e32 v0, 24, v40
	v_cmp_ne_u32_sdwa s[74:75], v40, s36 src0_sel:BYTE_3 src1_sel:DWORD
	v_bfrev_b32_e32 v4, 1
	s_and_saveexec_b64 s[72:73], s[74:75]
	s_cbranch_execz .LBB0_386
; %bb.383:                              ;   in Loop: Header=BB0_299 Depth=3
	v_bfe_u32 v23, v40, 24, 7
	v_cmp_ne_u32_e32 vcc, s37, v23
	v_mov_b32_e32 v4, 0x7f800001
	s_and_saveexec_b64 s[74:75], vcc
	s_cbranch_execz .LBB0_385
; %bb.384:                              ;   in Loop: Header=BB0_299 Depth=3
	v_and_b32_e32 v4, 7, v0
	v_lshrrev_b32_e32 v27, 3, v23
	v_cmp_gt_u32_e32 vcc, 8, v23
	v_ffbh_u32_e32 v23, v4
	v_min_u32_e32 v28, 32, v23
	v_subrev_u32_e32 v23, 28, v28
	v_lshlrev_b64 v[23:24], v23, v[0:1]
	v_sub_u32_e32 v0, 29, v28
	v_and_b32_e32 v23, 7, v23
	v_cndmask_b32_e32 v0, v27, v0, vcc
	v_cndmask_b32_e32 v4, v4, v23, vcc
	v_lshlrev_b32_sdwa v23, v55, v40 dst_sel:DWORD dst_unused:UNUSED_PAD src0_sel:DWORD src1_sel:BYTE_3
	v_lshlrev_b32_e32 v4, 20, v4
	v_and_b32_e32 v23, 0x80000000, v23
	v_lshl_add_u32 v0, v0, 23, v7
	v_or3_b32 v4, v23, v0, v4
.LBB0_385:                              ;   in Loop: Header=BB0_299 Depth=3
	s_or_b64 exec, exec, s[74:75]
.LBB0_386:                              ;   in Loop: Header=BB0_299 Depth=3
	s_or_b64 exec, exec, s[72:73]
.LBB0_387:                              ;   in Loop: Header=BB0_299 Depth=3
	s_or_b64 exec, exec, s[18:19]
	v_mul_f32_e32 v27, v62, v4
	v_and_b32_e32 v40, 0x7f800000, v27
	v_cmp_ne_u64_e32 vcc, s[46:47], v[40:41]
                                        ; implicit-def: $vgpr4
	s_and_saveexec_b64 s[18:19], vcc
	s_xor_b64 s[72:73], exec, s[18:19]
	s_cbranch_execz .LBB0_401
; %bb.388:                              ;   in Loop: Header=BB0_299 Depth=3
	v_and_b32_e32 v40, 0x7fffffff, v27
	v_cmp_gt_u64_e32 vcc, s[56:57], v[40:41]
	v_and_b32_sdwa v0, v27, s36 dst_sel:DWORD dst_unused:UNUSED_PAD src0_sel:BYTE_3 src1_sel:DWORD
                                        ; implicit-def: $vgpr4
	s_and_saveexec_b64 s[18:19], vcc
	s_xor_b64 s[74:75], exec, s[18:19]
	s_cbranch_execz .LBB0_398
; %bb.389:                              ;   in Loop: Header=BB0_299 Depth=3
	v_mov_b32_e32 v4, 0
	v_cmp_ne_u32_e32 vcc, 0, v27
	s_and_saveexec_b64 s[76:77], vcc
	s_cbranch_execz .LBB0_397
; %bb.390:                              ;   in Loop: Header=BB0_299 Depth=3
	v_bfe_u32 v4, v27, 23, 8
	v_cmp_gt_u32_e64 s[18:19], s38, v4
	v_sub_u32_e32 v24, 0x79, v4
	v_and_b32_e32 v23, 0x7fffff, v27
	v_cmp_eq_u32_e32 vcc, 0, v4
	v_cndmask_b32_e64 v24, 0, v24, s[18:19]
	v_or_b32_e32 v27, 0x800000, v23
	v_cndmask_b32_e32 v59, v24, v8, vcc
	v_cndmask_b32_e32 v40, v27, v23, vcc
	v_add_u32_e32 v23, 20, v59
	v_lshlrev_b64 v[23:24], v23, -1
	v_add_u32_e32 v27, 19, v59
	v_lshlrev_b64 v[27:28], v27, 1
	v_bfi_b32 v24, v24, 0, 0
	v_bfi_b32 v23, v23, 0, v40
	v_cmp_eq_u64_e64 s[18:19], v[23:24], v[27:28]
	v_lshrrev_b64 v[27:28], v59, v[40:41]
	v_mov_b32_e32 v43, v28
	v_mov_b32_e32 v42, v27
	s_and_saveexec_b64 s[78:79], s[18:19]
; %bb.391:                              ;   in Loop: Header=BB0_299 Depth=3
	v_bfe_u32 v23, v27, 20, 1
	v_add_co_u32_e64 v23, s[18:19], v27, v23
	v_add_co_u32_e64 v42, s[18:19], -1, v23
; %bb.392:                              ;   in Loop: Header=BB0_299 Depth=3
	s_or_b64 exec, exec, s[78:79]
	v_add_u32_e32 v4, 0xffffff81, v4
	v_cndmask_b32_e32 v4, v4, v54, vcc
	v_lshrrev_b32_e32 v23, 23, v27
	v_add3_u32 v24, v59, v4, v23
	v_add_u32_e32 v23, 6, v24
	v_and_b32_e32 v4, 0xfffff, v42
	v_add_u32_e32 v40, v4, v27
	v_cmp_ne_u32_e32 vcc, 0, v23
                                        ; implicit-def: $vgpr27_vgpr28
                                        ; implicit-def: $vgpr4
	s_and_saveexec_b64 s[18:19], vcc
	s_xor_b64 s[18:19], exec, s[18:19]
; %bb.393:                              ;   in Loop: Header=BB0_299 Depth=3
	v_cmp_lt_u64_e32 vcc, s[58:59], v[40:41]
	v_add_u32_e32 v4, 7, v24
	v_cndmask_b32_e32 v4, v23, v4, vcc
	v_cndmask_b32_e64 v23, 0, 1, vcc
	v_lshrrev_b64 v[27:28], v23, v[40:41]
; %bb.394:                              ;   in Loop: Header=BB0_299 Depth=3
	s_andn2_saveexec_b64 s[18:19], s[18:19]
; %bb.395:                              ;   in Loop: Header=BB0_299 Depth=3
	v_mov_b32_e32 v27, v40
	v_bfe_u32 v4, v40, 23, 1
	v_mov_b32_e32 v28, v41
; %bb.396:                              ;   in Loop: Header=BB0_299 Depth=3
	s_or_b64 exec, exec, s[18:19]
	v_lshrrev_b64 v[23:24], 20, v[27:28]
	v_cmp_gt_i32_e32 vcc, 16, v4
	v_cndmask_b32_e32 v24, 0, v24, vcc
	v_cndmask_b32_e32 v23, 7, v23, vcc
	v_cmp_eq_u32_e32 vcc, 0, v4
	v_min_i32_e32 v4, 15, v4
	v_cmp_eq_u64_e64 s[18:19], 0, v[23:24]
	v_lshlrev_b32_e32 v4, 3, v4
	v_and_b32_e32 v4, 0xf8, v4
	v_and_or_b32 v4, v23, 7, v4
	s_and_b64 s[18:19], vcc, s[18:19]
	v_cndmask_b32_e64 v4, v4, 0, s[18:19]
	v_or_b32_e32 v4, v4, v0
.LBB0_397:                              ;   in Loop: Header=BB0_299 Depth=3
	s_or_b64 exec, exec, s[76:77]
                                        ; implicit-def: $vgpr0
.LBB0_398:                              ;   in Loop: Header=BB0_299 Depth=3
	s_andn2_saveexec_b64 s[18:19], s[74:75]
; %bb.399:                              ;   in Loop: Header=BB0_299 Depth=3
	v_or_b32_e32 v4, 0x7e, v0
; %bb.400:                              ;   in Loop: Header=BB0_299 Depth=3
	s_or_b64 exec, exec, s[18:19]
                                        ; implicit-def: $vgpr27
.LBB0_401:                              ;   in Loop: Header=BB0_299 Depth=3
	s_andn2_saveexec_b64 s[18:19], s[72:73]
; %bb.402:                              ;   in Loop: Header=BB0_299 Depth=3
	v_or_b32_sdwa v4, v27, s37 dst_sel:DWORD dst_unused:UNUSED_PAD src0_sel:BYTE_3 src1_sel:DWORD
; %bb.403:                              ;   in Loop: Header=BB0_299 Depth=3
	s_or_b64 exec, exec, s[18:19]
	v_alignbit_b32 v40, v31, v45, v57
	v_cmp_ne_u16_sdwa s[72:73], v40, v41 src0_sel:BYTE_0 src1_sel:DWORD
	v_mov_b32_e32 v0, 0
	s_and_saveexec_b64 s[18:19], s[72:73]
	s_cbranch_execz .LBB0_409
; %bb.404:                              ;   in Loop: Header=BB0_299 Depth=3
	v_cmp_ne_u16_sdwa s[74:75], v40, s36 src0_sel:BYTE_0 src1_sel:DWORD
	v_bfrev_b32_e32 v0, 1
	s_and_saveexec_b64 s[72:73], s[74:75]
	s_cbranch_execz .LBB0_408
; %bb.405:                              ;   in Loop: Header=BB0_299 Depth=3
	v_and_b32_e32 v23, 0x7f, v40
	v_cmp_ne_u32_e32 vcc, s37, v23
	v_mov_b32_e32 v0, 0x7f800001
	s_and_saveexec_b64 s[74:75], vcc
	s_cbranch_execz .LBB0_407
; %bb.406:                              ;   in Loop: Header=BB0_299 Depth=3
	v_and_b32_e32 v0, 7, v40
	v_ffbh_u32_e32 v0, v0
	v_min_u32_e32 v0, 32, v0
	v_lshrrev_b32_e32 v24, 3, v23
	v_cmp_gt_u32_e32 vcc, 8, v23
	v_subrev_u32_e32 v23, 28, v0
	v_sub_u32_e32 v0, 29, v0
	v_cndmask_b32_e32 v23, 0, v23, vcc
	v_cndmask_b32_e32 v0, v24, v0, vcc
	v_lshlrev_b64 v[23:24], v23, v[40:41]
	v_lshlrev_b32_e32 v24, 24, v40
	v_lshlrev_b32_e32 v23, 20, v23
	v_and_b32_e32 v23, 0x700000, v23
	v_and_b32_e32 v24, 0x80000000, v24
	v_lshl_add_u32 v0, v0, 23, v7
	v_or3_b32 v0, v24, v0, v23
.LBB0_407:                              ;   in Loop: Header=BB0_299 Depth=3
	s_or_b64 exec, exec, s[74:75]
.LBB0_408:                              ;   in Loop: Header=BB0_299 Depth=3
	s_or_b64 exec, exec, s[72:73]
.LBB0_409:                              ;   in Loop: Header=BB0_299 Depth=3
	s_or_b64 exec, exec, s[18:19]
	v_mul_f32_e32 v27, v62, v0
	v_and_b32_e32 v23, 0x7f800000, v27
	v_mov_b32_e32 v24, v41
	v_cmp_ne_u64_e32 vcc, s[46:47], v[23:24]
                                        ; implicit-def: $vgpr59
	s_and_saveexec_b64 s[18:19], vcc
	s_xor_b64 s[72:73], exec, s[18:19]
	s_cbranch_execz .LBB0_423
; %bb.410:                              ;   in Loop: Header=BB0_299 Depth=3
	v_and_b32_e32 v23, 0x7fffffff, v27
	v_mov_b32_e32 v24, v41
	v_cmp_gt_u64_e32 vcc, s[56:57], v[23:24]
	v_and_b32_sdwa v0, v27, s36 dst_sel:DWORD dst_unused:UNUSED_PAD src0_sel:BYTE_3 src1_sel:DWORD
                                        ; implicit-def: $vgpr59
	s_and_saveexec_b64 s[18:19], vcc
	s_xor_b64 s[74:75], exec, s[18:19]
	s_cbranch_execz .LBB0_420
; %bb.411:                              ;   in Loop: Header=BB0_299 Depth=3
	v_mov_b32_e32 v59, 0
	v_cmp_ne_u32_e32 vcc, 0, v27
	s_and_saveexec_b64 s[76:77], vcc
	s_cbranch_execz .LBB0_419
; %bb.412:                              ;   in Loop: Header=BB0_299 Depth=3
	v_bfe_u32 v31, v27, 23, 8
	v_cmp_gt_u32_e64 s[18:19], s38, v31
	v_sub_u32_e32 v24, 0x79, v31
	v_and_b32_e32 v23, 0x7fffff, v27
	v_cmp_eq_u32_e32 vcc, 0, v31
	v_cndmask_b32_e64 v24, 0, v24, s[18:19]
	v_or_b32_e32 v27, 0x800000, v23
	v_cndmask_b32_e32 v45, v24, v8, vcc
	v_cndmask_b32_e32 v23, v27, v23, vcc
	v_add_u32_e32 v27, 20, v45
	v_lshlrev_b64 v[27:28], v27, -1
	v_add_u32_e32 v42, 19, v45
	v_lshlrev_b64 v[42:43], v42, 1
	v_mov_b32_e32 v24, v41
	v_bfi_b32 v28, v28, 0, 0
	v_bfi_b32 v27, v27, 0, v23
	v_cmp_eq_u64_e64 s[18:19], v[27:28], v[42:43]
	v_lshrrev_b64 v[27:28], v45, v[23:24]
	v_mov_b32_e32 v43, v28
	v_mov_b32_e32 v42, v27
	s_and_saveexec_b64 s[78:79], s[18:19]
; %bb.413:                              ;   in Loop: Header=BB0_299 Depth=3
	v_bfe_u32 v23, v27, 20, 1
	v_add_co_u32_e64 v23, s[18:19], v27, v23
	v_add_co_u32_e64 v42, s[18:19], -1, v23
; %bb.414:                              ;   in Loop: Header=BB0_299 Depth=3
	s_or_b64 exec, exec, s[78:79]
	v_add_u32_e32 v23, 0xffffff81, v31
	v_cndmask_b32_e32 v23, v23, v54, vcc
	v_lshrrev_b32_e32 v24, 23, v27
	v_add3_u32 v24, v45, v23, v24
	v_add_u32_e32 v23, 6, v24
	v_and_b32_e32 v28, 0xfffff, v42
	v_add_u32_e32 v27, v28, v27
	v_mov_b32_e32 v28, v41
	v_cmp_ne_u32_e32 vcc, 0, v23
                                        ; implicit-def: $vgpr31
	s_and_saveexec_b64 s[18:19], vcc
	s_xor_b64 s[18:19], exec, s[18:19]
; %bb.415:                              ;   in Loop: Header=BB0_299 Depth=3
	v_cmp_lt_u64_e32 vcc, s[58:59], v[27:28]
	v_add_u32_e32 v24, 7, v24
	v_cndmask_b32_e32 v31, v23, v24, vcc
	v_cndmask_b32_e64 v23, 0, 1, vcc
	v_lshrrev_b64 v[27:28], v23, v[27:28]
; %bb.416:                              ;   in Loop: Header=BB0_299 Depth=3
	s_andn2_saveexec_b64 s[18:19], s[18:19]
; %bb.417:                              ;   in Loop: Header=BB0_299 Depth=3
	v_bfe_u32 v31, v27, 23, 1
; %bb.418:                              ;   in Loop: Header=BB0_299 Depth=3
	s_or_b64 exec, exec, s[18:19]
	v_lshrrev_b64 v[23:24], 20, v[27:28]
	v_cmp_gt_i32_e32 vcc, 16, v31
	v_cndmask_b32_e32 v24, 0, v24, vcc
	v_cndmask_b32_e32 v23, 7, v23, vcc
	v_cmp_eq_u64_e64 s[18:19], 0, v[23:24]
	v_min_i32_e32 v24, 15, v31
	v_lshlrev_b32_e32 v24, 3, v24
	v_cmp_eq_u32_e32 vcc, 0, v31
	v_and_b32_e32 v24, 0xf8, v24
	v_and_or_b32 v23, v23, 7, v24
	s_and_b64 s[18:19], vcc, s[18:19]
	v_cndmask_b32_e64 v23, v23, 0, s[18:19]
	v_or_b32_e32 v59, v23, v0
.LBB0_419:                              ;   in Loop: Header=BB0_299 Depth=3
	s_or_b64 exec, exec, s[76:77]
                                        ; implicit-def: $vgpr0
.LBB0_420:                              ;   in Loop: Header=BB0_299 Depth=3
	s_andn2_saveexec_b64 s[18:19], s[74:75]
; %bb.421:                              ;   in Loop: Header=BB0_299 Depth=3
	v_or_b32_e32 v59, 0x7e, v0
; %bb.422:                              ;   in Loop: Header=BB0_299 Depth=3
	s_or_b64 exec, exec, s[18:19]
                                        ; implicit-def: $vgpr27
.LBB0_423:                              ;   in Loop: Header=BB0_299 Depth=3
	s_andn2_saveexec_b64 s[18:19], s[72:73]
; %bb.424:                              ;   in Loop: Header=BB0_299 Depth=3
	v_or_b32_sdwa v59, v27, s37 dst_sel:DWORD dst_unused:UNUSED_PAD src0_sel:BYTE_3 src1_sel:DWORD
; %bb.425:                              ;   in Loop: Header=BB0_299 Depth=3
	s_or_b64 exec, exec, s[18:19]
	v_lshrrev_b16_e32 v0, 8, v40
	v_cmp_ne_u16_e32 vcc, 0, v0
	v_mov_b32_e32 v23, 0
	s_and_saveexec_b64 s[18:19], vcc
	s_cbranch_execz .LBB0_431
; %bb.426:                              ;   in Loop: Header=BB0_299 Depth=3
	v_cmp_ne_u16_e32 vcc, s36, v0
	v_bfrev_b32_e32 v23, 1
	s_and_saveexec_b64 s[72:73], vcc
	s_cbranch_execz .LBB0_430
; %bb.427:                              ;   in Loop: Header=BB0_299 Depth=3
	v_and_b32_e32 v24, 0x7f, v0
	v_cmp_ne_u32_e32 vcc, s37, v24
	v_mov_b32_e32 v23, 0x7f800001
	s_and_saveexec_b64 s[74:75], vcc
	s_cbranch_execz .LBB0_429
; %bb.428:                              ;   in Loop: Header=BB0_299 Depth=3
	v_and_b32_e32 v27, 7, v0
	v_ffbh_u32_e32 v23, v27
	v_min_u32_e32 v31, 32, v23
	v_subrev_u32_e32 v23, 28, v31
	v_lshrrev_b32_e32 v28, 3, v24
	v_cmp_gt_u32_e32 vcc, 8, v24
	v_lshlrev_b64 v[23:24], v23, v[0:1]
	v_sub_u32_e32 v0, 29, v31
	v_and_b32_e32 v23, 7, v23
	v_cndmask_b32_e32 v0, v28, v0, vcc
	v_cndmask_b32_e32 v23, v27, v23, vcc
	v_lshlrev_b32_e32 v24, 16, v40
	v_lshlrev_b32_e32 v23, 20, v23
	v_and_b32_e32 v24, 0x80000000, v24
	v_lshl_add_u32 v0, v0, 23, v7
	v_or3_b32 v23, v24, v0, v23
.LBB0_429:                              ;   in Loop: Header=BB0_299 Depth=3
	s_or_b64 exec, exec, s[74:75]
.LBB0_430:                              ;   in Loop: Header=BB0_299 Depth=3
	s_or_b64 exec, exec, s[72:73]
.LBB0_431:                              ;   in Loop: Header=BB0_299 Depth=3
	s_or_b64 exec, exec, s[18:19]
	v_mul_f32_e32 v27, v62, v23
	v_and_b32_e32 v23, 0x7f800000, v27
	v_mov_b32_e32 v24, v41
	v_cmp_ne_u64_e32 vcc, s[46:47], v[23:24]
                                        ; implicit-def: $vgpr45
	s_and_saveexec_b64 s[18:19], vcc
	s_xor_b64 s[72:73], exec, s[18:19]
	s_cbranch_execz .LBB0_445
; %bb.432:                              ;   in Loop: Header=BB0_299 Depth=3
	v_and_b32_e32 v23, 0x7fffffff, v27
	v_mov_b32_e32 v24, v41
	v_cmp_gt_u64_e32 vcc, s[56:57], v[23:24]
	v_and_b32_sdwa v0, v27, s36 dst_sel:DWORD dst_unused:UNUSED_PAD src0_sel:BYTE_3 src1_sel:DWORD
                                        ; implicit-def: $vgpr45
	s_and_saveexec_b64 s[18:19], vcc
	s_xor_b64 s[74:75], exec, s[18:19]
	s_cbranch_execz .LBB0_442
; %bb.433:                              ;   in Loop: Header=BB0_299 Depth=3
	v_mov_b32_e32 v45, 0
	v_cmp_ne_u32_e32 vcc, 0, v27
	s_and_saveexec_b64 s[76:77], vcc
	s_cbranch_execz .LBB0_441
; %bb.434:                              ;   in Loop: Header=BB0_299 Depth=3
	v_bfe_u32 v31, v27, 23, 8
	v_cmp_gt_u32_e64 s[18:19], s38, v31
	v_sub_u32_e32 v24, 0x79, v31
	v_and_b32_e32 v23, 0x7fffff, v27
	v_cmp_eq_u32_e32 vcc, 0, v31
	v_cndmask_b32_e64 v24, 0, v24, s[18:19]
	v_or_b32_e32 v27, 0x800000, v23
	v_cndmask_b32_e32 v45, v24, v8, vcc
	v_cndmask_b32_e32 v23, v27, v23, vcc
	v_add_u32_e32 v27, 20, v45
	v_lshlrev_b64 v[27:28], v27, -1
	v_add_u32_e32 v42, 19, v45
	v_lshlrev_b64 v[42:43], v42, 1
	v_mov_b32_e32 v24, v41
	v_bfi_b32 v28, v28, 0, 0
	v_bfi_b32 v27, v27, 0, v23
	v_cmp_eq_u64_e64 s[18:19], v[27:28], v[42:43]
	v_lshrrev_b64 v[27:28], v45, v[23:24]
	v_mov_b32_e32 v43, v28
	v_mov_b32_e32 v42, v27
	s_and_saveexec_b64 s[78:79], s[18:19]
; %bb.435:                              ;   in Loop: Header=BB0_299 Depth=3
	v_bfe_u32 v23, v27, 20, 1
	v_add_co_u32_e64 v23, s[18:19], v27, v23
	v_add_co_u32_e64 v42, s[18:19], -1, v23
; %bb.436:                              ;   in Loop: Header=BB0_299 Depth=3
	s_or_b64 exec, exec, s[78:79]
	v_add_u32_e32 v23, 0xffffff81, v31
	v_cndmask_b32_e32 v23, v23, v54, vcc
	v_lshrrev_b32_e32 v24, 23, v27
	v_add3_u32 v24, v45, v23, v24
	v_add_u32_e32 v23, 6, v24
	v_and_b32_e32 v28, 0xfffff, v42
	v_add_u32_e32 v27, v28, v27
	v_mov_b32_e32 v28, v41
	v_cmp_ne_u32_e32 vcc, 0, v23
                                        ; implicit-def: $vgpr31
	s_and_saveexec_b64 s[18:19], vcc
	s_xor_b64 s[18:19], exec, s[18:19]
; %bb.437:                              ;   in Loop: Header=BB0_299 Depth=3
	v_cmp_lt_u64_e32 vcc, s[58:59], v[27:28]
	v_add_u32_e32 v24, 7, v24
	v_cndmask_b32_e32 v31, v23, v24, vcc
	v_cndmask_b32_e64 v23, 0, 1, vcc
	v_lshrrev_b64 v[27:28], v23, v[27:28]
; %bb.438:                              ;   in Loop: Header=BB0_299 Depth=3
	s_andn2_saveexec_b64 s[18:19], s[18:19]
; %bb.439:                              ;   in Loop: Header=BB0_299 Depth=3
	v_bfe_u32 v31, v27, 23, 1
; %bb.440:                              ;   in Loop: Header=BB0_299 Depth=3
	s_or_b64 exec, exec, s[18:19]
	v_lshrrev_b64 v[23:24], 20, v[27:28]
	v_cmp_gt_i32_e32 vcc, 16, v31
	v_cndmask_b32_e32 v24, 0, v24, vcc
	v_cndmask_b32_e32 v23, 7, v23, vcc
	v_cmp_eq_u64_e64 s[18:19], 0, v[23:24]
	v_min_i32_e32 v24, 15, v31
	v_lshlrev_b32_e32 v24, 3, v24
	v_cmp_eq_u32_e32 vcc, 0, v31
	v_and_b32_e32 v24, 0xf8, v24
	v_and_or_b32 v23, v23, 7, v24
	s_and_b64 s[18:19], vcc, s[18:19]
	v_cndmask_b32_e64 v23, v23, 0, s[18:19]
	v_or_b32_e32 v45, v23, v0
.LBB0_441:                              ;   in Loop: Header=BB0_299 Depth=3
	s_or_b64 exec, exec, s[76:77]
                                        ; implicit-def: $vgpr0
.LBB0_442:                              ;   in Loop: Header=BB0_299 Depth=3
	s_andn2_saveexec_b64 s[18:19], s[74:75]
; %bb.443:                              ;   in Loop: Header=BB0_299 Depth=3
	v_or_b32_e32 v45, 0x7e, v0
; %bb.444:                              ;   in Loop: Header=BB0_299 Depth=3
	s_or_b64 exec, exec, s[18:19]
                                        ; implicit-def: $vgpr27
.LBB0_445:                              ;   in Loop: Header=BB0_299 Depth=3
	s_andn2_saveexec_b64 s[18:19], s[72:73]
; %bb.446:                              ;   in Loop: Header=BB0_299 Depth=3
	v_or_b32_sdwa v45, v27, s37 dst_sel:DWORD dst_unused:UNUSED_PAD src0_sel:BYTE_3 src1_sel:DWORD
; %bb.447:                              ;   in Loop: Header=BB0_299 Depth=3
	s_or_b64 exec, exec, s[18:19]
	v_and_b32_sdwa v24, v40, s35 dst_sel:DWORD dst_unused:UNUSED_PAD src0_sel:WORD_1 src1_sel:DWORD
	v_lshrrev_b32_e32 v0, 16, v40
	v_cmp_ne_u16_e32 vcc, 0, v24
	v_mov_b32_e32 v23, 0
	s_and_saveexec_b64 s[18:19], vcc
	s_cbranch_execz .LBB0_453
; %bb.448:                              ;   in Loop: Header=BB0_299 Depth=3
	v_cmp_ne_u16_e32 vcc, s36, v24
	v_bfrev_b32_e32 v23, 1
	s_and_saveexec_b64 s[72:73], vcc
	s_cbranch_execz .LBB0_452
; %bb.449:                              ;   in Loop: Header=BB0_299 Depth=3
	v_bfe_u32 v24, v40, 16, 7
	v_cmp_ne_u32_e32 vcc, s37, v24
	v_mov_b32_e32 v23, 0x7f800001
	s_and_saveexec_b64 s[74:75], vcc
	s_cbranch_execz .LBB0_451
; %bb.450:                              ;   in Loop: Header=BB0_299 Depth=3
	v_and_b32_e32 v27, 7, v0
	v_ffbh_u32_e32 v23, v27
	v_min_u32_e32 v31, 32, v23
	v_subrev_u32_e32 v23, 28, v31
	v_lshrrev_b32_e32 v28, 3, v24
	v_cmp_gt_u32_e32 vcc, 8, v24
	v_lshlrev_b64 v[23:24], v23, v[0:1]
	v_sub_u32_e32 v0, 29, v31
	v_and_b32_e32 v23, 7, v23
	v_cndmask_b32_e32 v0, v28, v0, vcc
	v_cndmask_b32_e32 v23, v27, v23, vcc
	v_lshlrev_b32_sdwa v24, v55, v40 dst_sel:DWORD dst_unused:UNUSED_PAD src0_sel:DWORD src1_sel:WORD_1
	v_lshlrev_b32_e32 v23, 20, v23
	v_and_b32_e32 v24, 0x80000000, v24
	v_lshl_add_u32 v0, v0, 23, v7
	v_or3_b32 v23, v24, v0, v23
.LBB0_451:                              ;   in Loop: Header=BB0_299 Depth=3
	s_or_b64 exec, exec, s[74:75]
.LBB0_452:                              ;   in Loop: Header=BB0_299 Depth=3
	s_or_b64 exec, exec, s[72:73]
.LBB0_453:                              ;   in Loop: Header=BB0_299 Depth=3
	s_or_b64 exec, exec, s[18:19]
	v_mul_f32_e32 v27, v62, v23
	v_and_b32_e32 v23, 0x7f800000, v27
	v_mov_b32_e32 v24, v41
	v_cmp_ne_u64_e32 vcc, s[46:47], v[23:24]
                                        ; implicit-def: $vgpr31
	s_and_saveexec_b64 s[18:19], vcc
	s_xor_b64 s[72:73], exec, s[18:19]
	s_cbranch_execz .LBB0_467
; %bb.454:                              ;   in Loop: Header=BB0_299 Depth=3
	v_and_b32_e32 v23, 0x7fffffff, v27
	v_mov_b32_e32 v24, v41
	v_cmp_gt_u64_e32 vcc, s[56:57], v[23:24]
	v_and_b32_sdwa v0, v27, s36 dst_sel:DWORD dst_unused:UNUSED_PAD src0_sel:BYTE_3 src1_sel:DWORD
                                        ; implicit-def: $vgpr31
	s_and_saveexec_b64 s[18:19], vcc
	s_xor_b64 s[74:75], exec, s[18:19]
	s_cbranch_execz .LBB0_464
; %bb.455:                              ;   in Loop: Header=BB0_299 Depth=3
	v_mov_b32_e32 v31, 0
	v_cmp_ne_u32_e32 vcc, 0, v27
	s_and_saveexec_b64 s[76:77], vcc
	s_cbranch_execz .LBB0_463
; %bb.456:                              ;   in Loop: Header=BB0_299 Depth=3
	v_bfe_u32 v31, v27, 23, 8
	v_cmp_gt_u32_e64 s[18:19], s38, v31
	v_sub_u32_e32 v24, 0x79, v31
	v_and_b32_e32 v23, 0x7fffff, v27
	v_cmp_eq_u32_e32 vcc, 0, v31
	v_cndmask_b32_e64 v24, 0, v24, s[18:19]
	v_or_b32_e32 v27, 0x800000, v23
	v_cndmask_b32_e32 v57, v24, v8, vcc
	v_cndmask_b32_e32 v23, v27, v23, vcc
	v_add_u32_e32 v27, 20, v57
	v_lshlrev_b64 v[27:28], v27, -1
	v_add_u32_e32 v42, 19, v57
	v_lshlrev_b64 v[42:43], v42, 1
	v_mov_b32_e32 v24, v41
	v_bfi_b32 v28, v28, 0, 0
	v_bfi_b32 v27, v27, 0, v23
	v_cmp_eq_u64_e64 s[18:19], v[27:28], v[42:43]
	v_lshrrev_b64 v[27:28], v57, v[23:24]
	v_mov_b32_e32 v43, v28
	v_mov_b32_e32 v42, v27
	s_and_saveexec_b64 s[78:79], s[18:19]
; %bb.457:                              ;   in Loop: Header=BB0_299 Depth=3
	v_bfe_u32 v23, v27, 20, 1
	v_add_co_u32_e64 v23, s[18:19], v27, v23
	v_add_co_u32_e64 v42, s[18:19], -1, v23
; %bb.458:                              ;   in Loop: Header=BB0_299 Depth=3
	s_or_b64 exec, exec, s[78:79]
	v_add_u32_e32 v23, 0xffffff81, v31
	v_cndmask_b32_e32 v23, v23, v54, vcc
	v_lshrrev_b32_e32 v24, 23, v27
	v_add3_u32 v24, v57, v23, v24
	v_add_u32_e32 v23, 6, v24
	v_and_b32_e32 v28, 0xfffff, v42
	v_add_u32_e32 v27, v28, v27
	v_mov_b32_e32 v28, v41
	v_cmp_ne_u32_e32 vcc, 0, v23
                                        ; implicit-def: $vgpr31
	s_and_saveexec_b64 s[18:19], vcc
	s_xor_b64 s[18:19], exec, s[18:19]
; %bb.459:                              ;   in Loop: Header=BB0_299 Depth=3
	v_cmp_lt_u64_e32 vcc, s[58:59], v[27:28]
	v_add_u32_e32 v24, 7, v24
	v_cndmask_b32_e32 v31, v23, v24, vcc
	v_cndmask_b32_e64 v23, 0, 1, vcc
	v_lshrrev_b64 v[27:28], v23, v[27:28]
; %bb.460:                              ;   in Loop: Header=BB0_299 Depth=3
	s_andn2_saveexec_b64 s[18:19], s[18:19]
; %bb.461:                              ;   in Loop: Header=BB0_299 Depth=3
	v_bfe_u32 v31, v27, 23, 1
; %bb.462:                              ;   in Loop: Header=BB0_299 Depth=3
	s_or_b64 exec, exec, s[18:19]
	v_lshrrev_b64 v[23:24], 20, v[27:28]
	v_cmp_gt_i32_e32 vcc, 16, v31
	v_cndmask_b32_e32 v24, 0, v24, vcc
	v_cndmask_b32_e32 v23, 7, v23, vcc
	v_cmp_eq_u64_e64 s[18:19], 0, v[23:24]
	v_min_i32_e32 v24, 15, v31
	v_lshlrev_b32_e32 v24, 3, v24
	v_cmp_eq_u32_e32 vcc, 0, v31
	v_and_b32_e32 v24, 0xf8, v24
	v_and_or_b32 v23, v23, 7, v24
	s_and_b64 s[18:19], vcc, s[18:19]
	v_cndmask_b32_e64 v23, v23, 0, s[18:19]
	v_or_b32_e32 v31, v23, v0
.LBB0_463:                              ;   in Loop: Header=BB0_299 Depth=3
	s_or_b64 exec, exec, s[76:77]
                                        ; implicit-def: $vgpr0
.LBB0_464:                              ;   in Loop: Header=BB0_299 Depth=3
	s_andn2_saveexec_b64 s[18:19], s[74:75]
; %bb.465:                              ;   in Loop: Header=BB0_299 Depth=3
	v_or_b32_e32 v31, 0x7e, v0
; %bb.466:                              ;   in Loop: Header=BB0_299 Depth=3
	s_or_b64 exec, exec, s[18:19]
                                        ; implicit-def: $vgpr27
.LBB0_467:                              ;   in Loop: Header=BB0_299 Depth=3
	s_andn2_saveexec_b64 s[18:19], s[72:73]
; %bb.468:                              ;   in Loop: Header=BB0_299 Depth=3
	v_or_b32_sdwa v31, v27, s37 dst_sel:DWORD dst_unused:UNUSED_PAD src0_sel:BYTE_3 src1_sel:DWORD
; %bb.469:                              ;   in Loop: Header=BB0_299 Depth=3
	s_or_b64 exec, exec, s[18:19]
	v_cmp_lt_u32_e32 vcc, s39, v40
	v_mov_b32_e32 v23, 0
	s_and_saveexec_b64 s[18:19], vcc
	s_cbranch_execz .LBB0_475
; %bb.470:                              ;   in Loop: Header=BB0_299 Depth=3
	v_lshrrev_b32_e32 v0, 24, v40
	v_cmp_ne_u32_sdwa s[74:75], v40, s36 src0_sel:BYTE_3 src1_sel:DWORD
	v_bfrev_b32_e32 v23, 1
	s_and_saveexec_b64 s[72:73], s[74:75]
	s_cbranch_execz .LBB0_474
; %bb.471:                              ;   in Loop: Header=BB0_299 Depth=3
	v_bfe_u32 v24, v40, 24, 7
	v_cmp_ne_u32_e32 vcc, s37, v24
	v_mov_b32_e32 v23, 0x7f800001
	s_and_saveexec_b64 s[74:75], vcc
	s_cbranch_execz .LBB0_473
; %bb.472:                              ;   in Loop: Header=BB0_299 Depth=3
	v_and_b32_e32 v27, 7, v0
	v_ffbh_u32_e32 v23, v27
	v_min_u32_e32 v42, 32, v23
	v_subrev_u32_e32 v23, 28, v42
	v_lshrrev_b32_e32 v28, 3, v24
	v_cmp_gt_u32_e32 vcc, 8, v24
	v_lshlrev_b64 v[23:24], v23, v[0:1]
	v_sub_u32_e32 v0, 29, v42
	v_and_b32_e32 v23, 7, v23
	v_cndmask_b32_e32 v0, v28, v0, vcc
	v_cndmask_b32_e32 v23, v27, v23, vcc
	v_lshlrev_b32_sdwa v24, v55, v40 dst_sel:DWORD dst_unused:UNUSED_PAD src0_sel:DWORD src1_sel:BYTE_3
	v_lshlrev_b32_e32 v23, 20, v23
	v_and_b32_e32 v24, 0x80000000, v24
	v_lshl_add_u32 v0, v0, 23, v7
	v_or3_b32 v23, v24, v0, v23
.LBB0_473:                              ;   in Loop: Header=BB0_299 Depth=3
	s_or_b64 exec, exec, s[74:75]
.LBB0_474:                              ;   in Loop: Header=BB0_299 Depth=3
	s_or_b64 exec, exec, s[72:73]
.LBB0_475:                              ;   in Loop: Header=BB0_299 Depth=3
	s_or_b64 exec, exec, s[18:19]
	v_mul_f32_e32 v27, v62, v23
	v_and_b32_e32 v40, 0x7f800000, v27
	v_cmp_ne_u64_e32 vcc, s[46:47], v[40:41]
                                        ; implicit-def: $vgpr57
	s_and_saveexec_b64 s[18:19], vcc
	s_xor_b64 s[72:73], exec, s[18:19]
	s_cbranch_execz .LBB0_489
; %bb.476:                              ;   in Loop: Header=BB0_299 Depth=3
	v_and_b32_e32 v40, 0x7fffffff, v27
	v_cmp_gt_u64_e32 vcc, s[56:57], v[40:41]
	v_and_b32_sdwa v0, v27, s36 dst_sel:DWORD dst_unused:UNUSED_PAD src0_sel:BYTE_3 src1_sel:DWORD
                                        ; implicit-def: $vgpr57
	s_and_saveexec_b64 s[18:19], vcc
	s_xor_b64 s[74:75], exec, s[18:19]
	s_cbranch_execz .LBB0_486
; %bb.477:                              ;   in Loop: Header=BB0_299 Depth=3
	v_mov_b32_e32 v57, 0
	v_cmp_ne_u32_e32 vcc, 0, v27
	s_and_saveexec_b64 s[76:77], vcc
	s_cbranch_execz .LBB0_485
; %bb.478:                              ;   in Loop: Header=BB0_299 Depth=3
	v_bfe_u32 v57, v27, 23, 8
	v_cmp_gt_u32_e64 s[18:19], s38, v57
	v_sub_u32_e32 v23, 0x79, v57
	v_and_b32_e32 v24, 0x7fffff, v27
	v_cmp_eq_u32_e32 vcc, 0, v57
	v_cndmask_b32_e64 v23, 0, v23, s[18:19]
	v_or_b32_e32 v27, 0x800000, v24
	v_cndmask_b32_e32 v23, v23, v8, vcc
	v_cndmask_b32_e32 v40, v27, v24, vcc
	v_add_u32_e32 v24, 20, v23
	v_lshlrev_b64 v[27:28], v24, -1
	v_add_u32_e32 v24, 19, v23
	v_lshlrev_b64 v[42:43], v24, 1
	v_bfi_b32 v28, v28, 0, 0
	v_bfi_b32 v27, v27, 0, v40
	v_cmp_eq_u64_e64 s[18:19], v[27:28], v[42:43]
	v_lshrrev_b64 v[27:28], v23, v[40:41]
	v_mov_b32_e32 v43, v28
	v_mov_b32_e32 v42, v27
	s_and_saveexec_b64 s[78:79], s[18:19]
; %bb.479:                              ;   in Loop: Header=BB0_299 Depth=3
	v_bfe_u32 v24, v27, 20, 1
	v_add_co_u32_e64 v24, s[18:19], v27, v24
	v_add_co_u32_e64 v42, s[18:19], -1, v24
; %bb.480:                              ;   in Loop: Header=BB0_299 Depth=3
	s_or_b64 exec, exec, s[78:79]
	v_add_u32_e32 v24, 0xffffff81, v57
	v_cndmask_b32_e32 v24, v24, v54, vcc
	v_lshrrev_b32_e32 v28, 23, v27
	v_add3_u32 v24, v23, v24, v28
	v_add_u32_e32 v23, 6, v24
	v_and_b32_e32 v28, 0xfffff, v42
	v_add_u32_e32 v40, v28, v27
	v_cmp_ne_u32_e32 vcc, 0, v23
                                        ; implicit-def: $vgpr27_vgpr28
                                        ; implicit-def: $vgpr42
	s_and_saveexec_b64 s[18:19], vcc
	s_xor_b64 s[18:19], exec, s[18:19]
; %bb.481:                              ;   in Loop: Header=BB0_299 Depth=3
	v_cmp_lt_u64_e32 vcc, s[58:59], v[40:41]
	v_add_u32_e32 v24, 7, v24
	v_cndmask_b32_e32 v42, v23, v24, vcc
	v_cndmask_b32_e64 v23, 0, 1, vcc
	v_lshrrev_b64 v[27:28], v23, v[40:41]
; %bb.482:                              ;   in Loop: Header=BB0_299 Depth=3
	s_andn2_saveexec_b64 s[18:19], s[18:19]
; %bb.483:                              ;   in Loop: Header=BB0_299 Depth=3
	v_mov_b32_e32 v27, v40
	v_bfe_u32 v42, v40, 23, 1
	v_mov_b32_e32 v28, v41
; %bb.484:                              ;   in Loop: Header=BB0_299 Depth=3
	s_or_b64 exec, exec, s[18:19]
	v_lshrrev_b64 v[23:24], 20, v[27:28]
	v_cmp_gt_i32_e32 vcc, 16, v42
	v_cndmask_b32_e32 v24, 0, v24, vcc
	v_cndmask_b32_e32 v23, 7, v23, vcc
	v_cmp_eq_u64_e64 s[18:19], 0, v[23:24]
	v_min_i32_e32 v24, 15, v42
	v_lshlrev_b32_e32 v24, 3, v24
	v_cmp_eq_u32_e32 vcc, 0, v42
	v_and_b32_e32 v24, 0xf8, v24
	v_and_or_b32 v23, v23, 7, v24
	s_and_b64 s[18:19], vcc, s[18:19]
	v_cndmask_b32_e64 v23, v23, 0, s[18:19]
	v_or_b32_e32 v57, v23, v0
.LBB0_485:                              ;   in Loop: Header=BB0_299 Depth=3
	s_or_b64 exec, exec, s[76:77]
                                        ; implicit-def: $vgpr0
.LBB0_486:                              ;   in Loop: Header=BB0_299 Depth=3
	s_andn2_saveexec_b64 s[18:19], s[74:75]
; %bb.487:                              ;   in Loop: Header=BB0_299 Depth=3
	v_or_b32_e32 v57, 0x7e, v0
; %bb.488:                              ;   in Loop: Header=BB0_299 Depth=3
	s_or_b64 exec, exec, s[18:19]
                                        ; implicit-def: $vgpr27
.LBB0_489:                              ;   in Loop: Header=BB0_299 Depth=3
	s_andn2_saveexec_b64 s[18:19], s[72:73]
; %bb.490:                              ;   in Loop: Header=BB0_299 Depth=3
	v_or_b32_sdwa v57, v27, s37 dst_sel:DWORD dst_unused:UNUSED_PAD src0_sel:BYTE_3 src1_sel:DWORD
; %bb.491:                              ;   in Loop: Header=BB0_299 Depth=3
	s_or_b64 exec, exec, s[18:19]
	s_waitcnt vmcnt(0)
	v_cmp_ne_u16_sdwa s[72:73], v19, v41 src0_sel:BYTE_0 src1_sel:DWORD
	v_mov_b32_e32 v0, 0
	v_mov_b32_e32 v27, 0
	s_and_saveexec_b64 s[18:19], s[72:73]
	s_cbranch_execz .LBB0_497
; %bb.492:                              ;   in Loop: Header=BB0_299 Depth=3
	v_cmp_ne_u16_sdwa s[74:75], v19, s36 src0_sel:BYTE_0 src1_sel:DWORD
	v_bfrev_b32_e32 v27, 1
	s_and_saveexec_b64 s[72:73], s[74:75]
	s_cbranch_execz .LBB0_496
; %bb.493:                              ;   in Loop: Header=BB0_299 Depth=3
	v_and_b32_e32 v23, 0x7f, v19
	v_cmp_ne_u32_e32 vcc, s37, v23
	v_mov_b32_e32 v27, 0x7f800001
	s_and_saveexec_b64 s[74:75], vcc
	s_cbranch_execz .LBB0_495
; %bb.494:                              ;   in Loop: Header=BB0_299 Depth=3
	v_and_b32_e32 v24, 7, v19
	v_lshrrev_b32_e32 v27, 3, v23
	v_cmp_gt_u32_e32 vcc, 8, v23
	v_ffbh_u32_e32 v23, v24
	v_min_u32_e32 v23, 32, v23
	v_subrev_u32_e32 v24, 28, v23
	v_sub_u32_e32 v23, 29, v23
	v_cndmask_b32_e32 v27, v27, v23, vcc
	v_cndmask_b32_e32 v23, 0, v24, vcc
	v_lshlrev_b64 v[23:24], v23, v[19:20]
	v_lshl_add_u32 v24, v27, 23, v7
	v_lshlrev_b32_e32 v20, 20, v23
	v_lshlrev_b32_e32 v23, 24, v19
	v_and_b32_e32 v20, 0x700000, v20
	v_and_b32_e32 v23, 0x80000000, v23
	v_or3_b32 v27, v23, v24, v20
.LBB0_495:                              ;   in Loop: Header=BB0_299 Depth=3
	s_or_b64 exec, exec, s[74:75]
.LBB0_496:                              ;   in Loop: Header=BB0_299 Depth=3
	s_or_b64 exec, exec, s[72:73]
.LBB0_497:                              ;   in Loop: Header=BB0_299 Depth=3
	s_or_b64 exec, exec, s[18:19]
	v_lshl_or_b32 v20, v44, 8, v17
	v_lshlrev_b32_e32 v23, 16, v56
	v_lshlrev_b32_e32 v4, 24, v4
	v_or3_b32 v40, v23, v4, v20
	v_cmp_ne_u32_e32 vcc, 0, v17
	s_and_saveexec_b64 s[18:19], vcc
	s_cbranch_execz .LBB0_503
; %bb.498:                              ;   in Loop: Header=BB0_299 Depth=3
	v_cmp_ne_u32_e32 vcc, s36, v17
	v_bfrev_b32_e32 v0, 1
	s_and_saveexec_b64 s[72:73], vcc
	s_cbranch_execz .LBB0_502
; %bb.499:                              ;   in Loop: Header=BB0_299 Depth=3
	v_and_b32_e32 v4, 0x7f, v17
	v_cmp_ne_u32_e32 vcc, s37, v4
	v_mov_b32_e32 v0, 0x7f800001
	s_and_saveexec_b64 s[74:75], vcc
	s_cbranch_execz .LBB0_501
; %bb.500:                              ;   in Loop: Header=BB0_299 Depth=3
	v_and_b32_e32 v0, 7, v17
	v_ffbh_u32_e32 v0, v0
	v_min_u32_e32 v0, 32, v0
	v_lshrrev_b32_e32 v17, 3, v4
	v_cmp_gt_u32_e32 vcc, 8, v4
	v_subrev_u32_e32 v4, 28, v0
	v_cndmask_b32_e32 v4, 0, v4, vcc
	v_lshlrev_b64 v[23:24], v4, v[40:41]
	v_sub_u32_e32 v0, 29, v0
	v_cndmask_b32_e32 v0, v17, v0, vcc
	v_lshlrev_b32_e32 v4, 20, v23
	v_lshlrev_b32_e32 v17, 24, v40
	v_and_b32_e32 v4, 0x700000, v4
	v_and_b32_e32 v17, 0x80000000, v17
	v_lshl_add_u32 v0, v0, 23, v7
	v_or3_b32 v0, v17, v0, v4
.LBB0_501:                              ;   in Loop: Header=BB0_299 Depth=3
	s_or_b64 exec, exec, s[74:75]
.LBB0_502:                              ;   in Loop: Header=BB0_299 Depth=3
	s_or_b64 exec, exec, s[72:73]
.LBB0_503:                              ;   in Loop: Header=BB0_299 Depth=3
	s_or_b64 exec, exec, s[18:19]
	v_add_f32_e32 v4, v27, v0
	v_and_b32_e32 v23, 0x7f800000, v4
	v_mov_b32_e32 v24, v41
	v_cmp_ne_u64_e32 vcc, s[46:47], v[23:24]
                                        ; implicit-def: $vgpr17
	s_and_saveexec_b64 s[18:19], vcc
	s_xor_b64 s[72:73], exec, s[18:19]
	s_cbranch_execz .LBB0_517
; %bb.504:                              ;   in Loop: Header=BB0_299 Depth=3
	v_and_b32_e32 v23, 0x7fffffff, v4
	v_mov_b32_e32 v24, v41
	v_cmp_gt_u64_e32 vcc, s[56:57], v[23:24]
	v_and_b32_sdwa v0, v4, s36 dst_sel:DWORD dst_unused:UNUSED_PAD src0_sel:BYTE_3 src1_sel:DWORD
                                        ; implicit-def: $vgpr17
	s_and_saveexec_b64 s[18:19], vcc
	s_xor_b64 s[74:75], exec, s[18:19]
	s_cbranch_execz .LBB0_514
; %bb.505:                              ;   in Loop: Header=BB0_299 Depth=3
	v_mov_b32_e32 v17, 0
	v_cmp_ne_u32_e32 vcc, 0, v4
	s_and_saveexec_b64 s[76:77], vcc
	s_cbranch_execz .LBB0_513
; %bb.506:                              ;   in Loop: Header=BB0_299 Depth=3
	v_and_b32_e32 v23, 0x7fffff, v4
	v_bfe_u32 v4, v4, 23, 8
	v_cmp_gt_u32_e64 s[18:19], s38, v4
	v_sub_u32_e32 v17, 0x79, v4
	v_cmp_eq_u32_e32 vcc, 0, v4
	v_cndmask_b32_e64 v17, 0, v17, s[18:19]
	v_cndmask_b32_e32 v17, v17, v8, vcc
	v_add_u32_e32 v27, 20, v17
	v_or_b32_e32 v24, 0x800000, v23
	v_lshlrev_b64 v[27:28], v27, -1
	v_add_u32_e32 v42, 19, v17
	v_cndmask_b32_e32 v23, v24, v23, vcc
	v_lshlrev_b64 v[42:43], v42, 1
	v_mov_b32_e32 v24, v41
	v_bfi_b32 v28, v28, 0, 0
	v_bfi_b32 v27, v27, 0, v23
	v_cmp_eq_u64_e64 s[18:19], v[27:28], v[42:43]
	v_lshrrev_b64 v[27:28], v17, v[23:24]
	v_mov_b32_e32 v43, v28
	v_mov_b32_e32 v42, v27
	s_and_saveexec_b64 s[78:79], s[18:19]
; %bb.507:                              ;   in Loop: Header=BB0_299 Depth=3
	v_bfe_u32 v23, v27, 20, 1
	v_add_co_u32_e64 v23, s[18:19], v27, v23
	v_add_co_u32_e64 v42, s[18:19], -1, v23
; %bb.508:                              ;   in Loop: Header=BB0_299 Depth=3
	s_or_b64 exec, exec, s[78:79]
	v_add_u32_e32 v4, 0xffffff81, v4
	v_cndmask_b32_e32 v4, v4, v54, vcc
	v_lshrrev_b32_e32 v23, 23, v27
	v_add3_u32 v23, v17, v4, v23
	v_add_u32_e32 v17, 6, v23
	v_and_b32_e32 v4, 0xfffff, v42
	v_add_u32_e32 v27, v4, v27
	v_mov_b32_e32 v28, v41
	v_cmp_ne_u32_e32 vcc, 0, v17
                                        ; implicit-def: $vgpr4
	s_and_saveexec_b64 s[18:19], vcc
	s_xor_b64 s[18:19], exec, s[18:19]
; %bb.509:                              ;   in Loop: Header=BB0_299 Depth=3
	v_cmp_lt_u64_e32 vcc, s[58:59], v[27:28]
	v_add_u32_e32 v4, 7, v23
	v_cndmask_b32_e32 v4, v17, v4, vcc
	v_cndmask_b32_e64 v17, 0, 1, vcc
	v_lshrrev_b64 v[27:28], v17, v[27:28]
; %bb.510:                              ;   in Loop: Header=BB0_299 Depth=3
	s_andn2_saveexec_b64 s[18:19], s[18:19]
; %bb.511:                              ;   in Loop: Header=BB0_299 Depth=3
	v_bfe_u32 v4, v27, 23, 1
; %bb.512:                              ;   in Loop: Header=BB0_299 Depth=3
	s_or_b64 exec, exec, s[18:19]
	v_lshrrev_b64 v[23:24], 20, v[27:28]
	v_cmp_gt_i32_e32 vcc, 16, v4
	v_cndmask_b32_e32 v24, 0, v24, vcc
	v_cndmask_b32_e32 v23, 7, v23, vcc
	v_cmp_eq_u32_e32 vcc, 0, v4
	v_min_i32_e32 v4, 15, v4
	v_cmp_eq_u64_e64 s[18:19], 0, v[23:24]
	v_lshlrev_b32_e32 v4, 3, v4
	v_and_b32_e32 v4, 0xf8, v4
	v_and_or_b32 v4, v23, 7, v4
	s_and_b64 s[18:19], vcc, s[18:19]
	v_cndmask_b32_e64 v4, v4, 0, s[18:19]
	v_or_b32_e32 v17, v4, v0
.LBB0_513:                              ;   in Loop: Header=BB0_299 Depth=3
	s_or_b64 exec, exec, s[76:77]
                                        ; implicit-def: $vgpr0
.LBB0_514:                              ;   in Loop: Header=BB0_299 Depth=3
	s_andn2_saveexec_b64 s[18:19], s[74:75]
; %bb.515:                              ;   in Loop: Header=BB0_299 Depth=3
	v_or_b32_e32 v17, 0x7e, v0
; %bb.516:                              ;   in Loop: Header=BB0_299 Depth=3
	s_or_b64 exec, exec, s[18:19]
                                        ; implicit-def: $vgpr4
.LBB0_517:                              ;   in Loop: Header=BB0_299 Depth=3
	s_andn2_saveexec_b64 s[18:19], s[72:73]
; %bb.518:                              ;   in Loop: Header=BB0_299 Depth=3
	v_or_b32_sdwa v17, v4, s37 dst_sel:DWORD dst_unused:UNUSED_PAD src0_sel:BYTE_3 src1_sel:DWORD
; %bb.519:                              ;   in Loop: Header=BB0_299 Depth=3
	s_or_b64 exec, exec, s[18:19]
	v_lshrrev_b16_e32 v0, 8, v19
	v_cmp_ne_u16_e32 vcc, 0, v0
	v_mov_b32_e32 v4, 0
	v_mov_b32_e32 v27, 0
	s_and_saveexec_b64 s[18:19], vcc
	s_cbranch_execz .LBB0_525
; %bb.520:                              ;   in Loop: Header=BB0_299 Depth=3
	v_cmp_ne_u16_e32 vcc, s36, v0
	v_bfrev_b32_e32 v27, 1
	s_and_saveexec_b64 s[72:73], vcc
	s_cbranch_execz .LBB0_524
; %bb.521:                              ;   in Loop: Header=BB0_299 Depth=3
	v_and_b32_e32 v23, 0x7f, v0
	v_cmp_ne_u32_e32 vcc, s37, v23
	v_mov_b32_e32 v27, 0x7f800001
	s_and_saveexec_b64 s[74:75], vcc
	s_cbranch_execz .LBB0_523
; %bb.522:                              ;   in Loop: Header=BB0_299 Depth=3
	v_and_b32_e32 v27, 7, v0
	v_lshrrev_b32_e32 v28, 3, v23
	v_cmp_gt_u32_e32 vcc, 8, v23
	v_ffbh_u32_e32 v23, v27
	v_min_u32_e32 v42, 32, v23
	v_subrev_u32_e32 v23, 28, v42
	v_lshlrev_b64 v[23:24], v23, v[0:1]
	v_sub_u32_e32 v0, 29, v42
	v_and_b32_e32 v23, 7, v23
	v_cndmask_b32_e32 v0, v28, v0, vcc
	v_cndmask_b32_e32 v23, v27, v23, vcc
	v_lshlrev_b32_e32 v24, 16, v19
	v_lshlrev_b32_e32 v23, 20, v23
	v_and_b32_e32 v24, 0x80000000, v24
	v_lshl_add_u32 v0, v0, 23, v7
	v_or3_b32 v27, v24, v0, v23
.LBB0_523:                              ;   in Loop: Header=BB0_299 Depth=3
	s_or_b64 exec, exec, s[74:75]
.LBB0_524:                              ;   in Loop: Header=BB0_299 Depth=3
	s_or_b64 exec, exec, s[72:73]
.LBB0_525:                              ;   in Loop: Header=BB0_299 Depth=3
	s_or_b64 exec, exec, s[18:19]
	v_lshrrev_b16_e32 v0, 8, v20
	v_cmp_ne_u16_e32 vcc, 0, v0
	s_and_saveexec_b64 s[18:19], vcc
	s_cbranch_execz .LBB0_531
; %bb.526:                              ;   in Loop: Header=BB0_299 Depth=3
	v_cmp_ne_u16_e32 vcc, s36, v0
	v_bfrev_b32_e32 v4, 1
	s_and_saveexec_b64 s[72:73], vcc
	s_cbranch_execz .LBB0_530
; %bb.527:                              ;   in Loop: Header=BB0_299 Depth=3
	v_and_b32_e32 v23, 0x7f, v0
	v_cmp_ne_u32_e32 vcc, s37, v23
	v_mov_b32_e32 v4, 0x7f800001
	s_and_saveexec_b64 s[74:75], vcc
	s_cbranch_execz .LBB0_529
; %bb.528:                              ;   in Loop: Header=BB0_299 Depth=3
	v_and_b32_e32 v4, 7, v0
	v_lshrrev_b32_e32 v28, 3, v23
	v_cmp_gt_u32_e32 vcc, 8, v23
	v_ffbh_u32_e32 v23, v4
	v_min_u32_e32 v42, 32, v23
	v_subrev_u32_e32 v23, 28, v42
	v_lshlrev_b64 v[23:24], v23, v[0:1]
	v_sub_u32_e32 v0, 29, v42
	v_and_b32_e32 v23, 7, v23
	v_cndmask_b32_e32 v0, v28, v0, vcc
	v_cndmask_b32_e32 v4, v4, v23, vcc
	v_lshlrev_b32_e32 v20, 16, v20
	v_lshlrev_b32_e32 v4, 20, v4
	v_and_b32_e32 v20, 0x80000000, v20
	v_lshl_add_u32 v0, v0, 23, v7
	v_or3_b32 v4, v20, v0, v4
.LBB0_529:                              ;   in Loop: Header=BB0_299 Depth=3
	s_or_b64 exec, exec, s[74:75]
.LBB0_530:                              ;   in Loop: Header=BB0_299 Depth=3
	s_or_b64 exec, exec, s[72:73]
.LBB0_531:                              ;   in Loop: Header=BB0_299 Depth=3
	s_or_b64 exec, exec, s[18:19]
	v_add_f32_e32 v4, v27, v4
	v_and_b32_e32 v23, 0x7f800000, v4
	v_mov_b32_e32 v24, v41
	v_cmp_ne_u64_e32 vcc, s[46:47], v[23:24]
                                        ; implicit-def: $vgpr44
	s_and_saveexec_b64 s[18:19], vcc
	s_xor_b64 s[72:73], exec, s[18:19]
	s_cbranch_execz .LBB0_545
; %bb.532:                              ;   in Loop: Header=BB0_299 Depth=3
	v_and_b32_e32 v23, 0x7fffffff, v4
	v_mov_b32_e32 v24, v41
	v_cmp_gt_u64_e32 vcc, s[56:57], v[23:24]
	v_and_b32_sdwa v0, v4, s36 dst_sel:DWORD dst_unused:UNUSED_PAD src0_sel:BYTE_3 src1_sel:DWORD
                                        ; implicit-def: $vgpr44
	s_and_saveexec_b64 s[18:19], vcc
	s_xor_b64 s[74:75], exec, s[18:19]
	s_cbranch_execz .LBB0_542
; %bb.533:                              ;   in Loop: Header=BB0_299 Depth=3
	v_mov_b32_e32 v44, 0
	v_cmp_ne_u32_e32 vcc, 0, v4
	s_and_saveexec_b64 s[76:77], vcc
	s_cbranch_execz .LBB0_541
; %bb.534:                              ;   in Loop: Header=BB0_299 Depth=3
	v_and_b32_e32 v23, 0x7fffff, v4
	v_bfe_u32 v4, v4, 23, 8
	v_cmp_gt_u32_e64 s[18:19], s38, v4
	v_sub_u32_e32 v20, 0x79, v4
	v_cmp_eq_u32_e32 vcc, 0, v4
	v_cndmask_b32_e64 v20, 0, v20, s[18:19]
	v_cndmask_b32_e32 v20, v20, v8, vcc
	v_add_u32_e32 v27, 20, v20
	v_or_b32_e32 v24, 0x800000, v23
	v_lshlrev_b64 v[27:28], v27, -1
	v_add_u32_e32 v42, 19, v20
	v_cndmask_b32_e32 v23, v24, v23, vcc
	v_lshlrev_b64 v[42:43], v42, 1
	v_mov_b32_e32 v24, v41
	v_bfi_b32 v28, v28, 0, 0
	v_bfi_b32 v27, v27, 0, v23
	v_cmp_eq_u64_e64 s[18:19], v[27:28], v[42:43]
	v_lshrrev_b64 v[27:28], v20, v[23:24]
	v_mov_b32_e32 v43, v28
	v_mov_b32_e32 v42, v27
	s_and_saveexec_b64 s[78:79], s[18:19]
; %bb.535:                              ;   in Loop: Header=BB0_299 Depth=3
	v_bfe_u32 v23, v27, 20, 1
	v_add_co_u32_e64 v23, s[18:19], v27, v23
	v_add_co_u32_e64 v42, s[18:19], -1, v23
; %bb.536:                              ;   in Loop: Header=BB0_299 Depth=3
	s_or_b64 exec, exec, s[78:79]
	v_add_u32_e32 v4, 0xffffff81, v4
	v_cndmask_b32_e32 v4, v4, v54, vcc
	v_lshrrev_b32_e32 v23, 23, v27
	v_add3_u32 v23, v20, v4, v23
	v_add_u32_e32 v20, 6, v23
	v_and_b32_e32 v4, 0xfffff, v42
	v_add_u32_e32 v27, v4, v27
	v_mov_b32_e32 v28, v41
	v_cmp_ne_u32_e32 vcc, 0, v20
                                        ; implicit-def: $vgpr4
	s_and_saveexec_b64 s[18:19], vcc
	s_xor_b64 s[18:19], exec, s[18:19]
; %bb.537:                              ;   in Loop: Header=BB0_299 Depth=3
	v_cmp_lt_u64_e32 vcc, s[58:59], v[27:28]
	v_add_u32_e32 v4, 7, v23
	v_cndmask_b32_e32 v4, v20, v4, vcc
	v_cndmask_b32_e64 v20, 0, 1, vcc
	v_lshrrev_b64 v[27:28], v20, v[27:28]
; %bb.538:                              ;   in Loop: Header=BB0_299 Depth=3
	s_andn2_saveexec_b64 s[18:19], s[18:19]
; %bb.539:                              ;   in Loop: Header=BB0_299 Depth=3
	v_bfe_u32 v4, v27, 23, 1
; %bb.540:                              ;   in Loop: Header=BB0_299 Depth=3
	s_or_b64 exec, exec, s[18:19]
	v_lshrrev_b64 v[23:24], 20, v[27:28]
	v_cmp_gt_i32_e32 vcc, 16, v4
	v_cndmask_b32_e32 v24, 0, v24, vcc
	v_cndmask_b32_e32 v23, 7, v23, vcc
	v_cmp_eq_u32_e32 vcc, 0, v4
	v_min_i32_e32 v4, 15, v4
	v_cmp_eq_u64_e64 s[18:19], 0, v[23:24]
	v_lshlrev_b32_e32 v4, 3, v4
	v_and_b32_e32 v4, 0xf8, v4
	v_and_or_b32 v4, v23, 7, v4
	s_and_b64 s[18:19], vcc, s[18:19]
	v_cndmask_b32_e64 v4, v4, 0, s[18:19]
	v_or_b32_e32 v44, v4, v0
.LBB0_541:                              ;   in Loop: Header=BB0_299 Depth=3
	s_or_b64 exec, exec, s[76:77]
                                        ; implicit-def: $vgpr0
.LBB0_542:                              ;   in Loop: Header=BB0_299 Depth=3
	s_andn2_saveexec_b64 s[18:19], s[74:75]
; %bb.543:                              ;   in Loop: Header=BB0_299 Depth=3
	v_or_b32_e32 v44, 0x7e, v0
; %bb.544:                              ;   in Loop: Header=BB0_299 Depth=3
	s_or_b64 exec, exec, s[18:19]
                                        ; implicit-def: $vgpr4
.LBB0_545:                              ;   in Loop: Header=BB0_299 Depth=3
	s_andn2_saveexec_b64 s[18:19], s[72:73]
; %bb.546:                              ;   in Loop: Header=BB0_299 Depth=3
	v_or_b32_sdwa v44, v4, s37 dst_sel:DWORD dst_unused:UNUSED_PAD src0_sel:BYTE_3 src1_sel:DWORD
; %bb.547:                              ;   in Loop: Header=BB0_299 Depth=3
	s_or_b64 exec, exec, s[18:19]
	v_lshrrev_b32_e32 v0, 16, v19
	v_cmp_ne_u16_sdwa s[72:73], v0, v41 src0_sel:BYTE_0 src1_sel:DWORD
	v_mov_b32_e32 v4, 0
	v_mov_b32_e32 v20, 0
	s_and_saveexec_b64 s[18:19], s[72:73]
	s_cbranch_execz .LBB0_553
; %bb.548:                              ;   in Loop: Header=BB0_299 Depth=3
	v_cmp_ne_u16_sdwa s[74:75], v0, s36 src0_sel:BYTE_0 src1_sel:DWORD
	v_bfrev_b32_e32 v20, 1
	s_and_saveexec_b64 s[72:73], s[74:75]
	s_cbranch_execz .LBB0_552
; %bb.549:                              ;   in Loop: Header=BB0_299 Depth=3
	v_bfe_u32 v23, v19, 16, 7
	v_cmp_ne_u32_e32 vcc, s37, v23
	v_mov_b32_e32 v20, 0x7f800001
	s_and_saveexec_b64 s[74:75], vcc
	s_cbranch_execz .LBB0_551
; %bb.550:                              ;   in Loop: Header=BB0_299 Depth=3
	v_and_b32_e32 v20, 7, v0
	v_lshrrev_b32_e32 v27, 3, v23
	v_cmp_gt_u32_e32 vcc, 8, v23
	v_ffbh_u32_e32 v23, v20
	v_min_u32_e32 v28, 32, v23
	v_subrev_u32_e32 v23, 28, v28
	v_lshlrev_b64 v[23:24], v23, v[0:1]
	v_sub_u32_e32 v24, 29, v28
	v_and_b32_e32 v23, 7, v23
	v_cndmask_b32_e32 v24, v27, v24, vcc
	v_cndmask_b32_e32 v20, v20, v23, vcc
	v_lshlrev_b32_e32 v0, 24, v0
	v_lshlrev_b32_e32 v20, 20, v20
	v_and_b32_e32 v0, 0x80000000, v0
	v_lshl_add_u32 v23, v24, 23, v7
	v_or3_b32 v20, v0, v23, v20
.LBB0_551:                              ;   in Loop: Header=BB0_299 Depth=3
	s_or_b64 exec, exec, s[74:75]
.LBB0_552:                              ;   in Loop: Header=BB0_299 Depth=3
	s_or_b64 exec, exec, s[72:73]
.LBB0_553:                              ;   in Loop: Header=BB0_299 Depth=3
	s_or_b64 exec, exec, s[18:19]
	v_and_b32_sdwa v23, v40, s35 dst_sel:DWORD dst_unused:UNUSED_PAD src0_sel:WORD_1 src1_sel:DWORD
	v_lshrrev_b32_e32 v0, 16, v40
	v_cmp_ne_u16_e32 vcc, 0, v23
	s_and_saveexec_b64 s[18:19], vcc
	s_cbranch_execz .LBB0_559
; %bb.554:                              ;   in Loop: Header=BB0_299 Depth=3
	v_cmp_ne_u16_e32 vcc, s36, v23
	v_bfrev_b32_e32 v4, 1
	s_and_saveexec_b64 s[72:73], vcc
	s_cbranch_execz .LBB0_558
; %bb.555:                              ;   in Loop: Header=BB0_299 Depth=3
	v_bfe_u32 v23, v40, 16, 7
	v_cmp_ne_u32_e32 vcc, s37, v23
	v_mov_b32_e32 v4, 0x7f800001
	s_and_saveexec_b64 s[74:75], vcc
	s_cbranch_execz .LBB0_557
; %bb.556:                              ;   in Loop: Header=BB0_299 Depth=3
	v_and_b32_e32 v4, 7, v0
	v_lshrrev_b32_e32 v27, 3, v23
	v_cmp_gt_u32_e32 vcc, 8, v23
	v_ffbh_u32_e32 v23, v4
	v_min_u32_e32 v28, 32, v23
	v_subrev_u32_e32 v23, 28, v28
	v_lshlrev_b64 v[23:24], v23, v[0:1]
	v_sub_u32_e32 v0, 29, v28
	v_and_b32_e32 v23, 7, v23
	v_cndmask_b32_e32 v0, v27, v0, vcc
	v_cndmask_b32_e32 v4, v4, v23, vcc
	v_lshlrev_b32_e32 v23, 8, v40
	v_lshlrev_b32_e32 v4, 20, v4
	v_and_b32_e32 v23, 0x80000000, v23
	v_lshl_add_u32 v0, v0, 23, v7
	v_or3_b32 v4, v23, v0, v4
.LBB0_557:                              ;   in Loop: Header=BB0_299 Depth=3
	s_or_b64 exec, exec, s[74:75]
.LBB0_558:                              ;   in Loop: Header=BB0_299 Depth=3
	s_or_b64 exec, exec, s[72:73]
.LBB0_559:                              ;   in Loop: Header=BB0_299 Depth=3
	s_or_b64 exec, exec, s[18:19]
	v_add_f32_e32 v4, v20, v4
	v_and_b32_e32 v23, 0x7f800000, v4
	v_mov_b32_e32 v24, v41
	v_cmp_ne_u64_e32 vcc, s[46:47], v[23:24]
                                        ; implicit-def: $vgpr42
	s_and_saveexec_b64 s[18:19], vcc
	s_xor_b64 s[72:73], exec, s[18:19]
	s_cbranch_execz .LBB0_573
; %bb.560:                              ;   in Loop: Header=BB0_299 Depth=3
	v_and_b32_e32 v23, 0x7fffffff, v4
	v_mov_b32_e32 v24, v41
	v_cmp_gt_u64_e32 vcc, s[56:57], v[23:24]
	v_and_b32_sdwa v0, v4, s36 dst_sel:DWORD dst_unused:UNUSED_PAD src0_sel:BYTE_3 src1_sel:DWORD
                                        ; implicit-def: $vgpr42
	s_and_saveexec_b64 s[18:19], vcc
	s_xor_b64 s[74:75], exec, s[18:19]
	s_cbranch_execz .LBB0_570
; %bb.561:                              ;   in Loop: Header=BB0_299 Depth=3
	v_mov_b32_e32 v42, 0
	v_cmp_ne_u32_e32 vcc, 0, v4
	s_and_saveexec_b64 s[76:77], vcc
	s_cbranch_execz .LBB0_569
; %bb.562:                              ;   in Loop: Header=BB0_299 Depth=3
	v_and_b32_e32 v23, 0x7fffff, v4
	v_bfe_u32 v4, v4, 23, 8
	v_cmp_gt_u32_e64 s[18:19], s38, v4
	v_sub_u32_e32 v20, 0x79, v4
	v_cmp_eq_u32_e32 vcc, 0, v4
	v_cndmask_b32_e64 v20, 0, v20, s[18:19]
	v_cndmask_b32_e32 v20, v20, v8, vcc
	v_add_u32_e32 v27, 20, v20
	v_or_b32_e32 v24, 0x800000, v23
	v_lshlrev_b64 v[27:28], v27, -1
	v_add_u32_e32 v42, 19, v20
	v_cndmask_b32_e32 v23, v24, v23, vcc
	v_lshlrev_b64 v[42:43], v42, 1
	v_mov_b32_e32 v24, v41
	v_bfi_b32 v28, v28, 0, 0
	v_bfi_b32 v27, v27, 0, v23
	v_cmp_eq_u64_e64 s[18:19], v[27:28], v[42:43]
	v_lshrrev_b64 v[27:28], v20, v[23:24]
	v_mov_b32_e32 v43, v28
	v_mov_b32_e32 v42, v27
	s_and_saveexec_b64 s[78:79], s[18:19]
; %bb.563:                              ;   in Loop: Header=BB0_299 Depth=3
	v_bfe_u32 v23, v27, 20, 1
	v_add_co_u32_e64 v23, s[18:19], v27, v23
	v_add_co_u32_e64 v42, s[18:19], -1, v23
; %bb.564:                              ;   in Loop: Header=BB0_299 Depth=3
	s_or_b64 exec, exec, s[78:79]
	v_add_u32_e32 v4, 0xffffff81, v4
	v_cndmask_b32_e32 v4, v4, v54, vcc
	v_lshrrev_b32_e32 v23, 23, v27
	v_add3_u32 v23, v20, v4, v23
	v_add_u32_e32 v20, 6, v23
	v_and_b32_e32 v4, 0xfffff, v42
	v_add_u32_e32 v27, v4, v27
	v_mov_b32_e32 v28, v41
	v_cmp_ne_u32_e32 vcc, 0, v20
                                        ; implicit-def: $vgpr4
	s_and_saveexec_b64 s[18:19], vcc
	s_xor_b64 s[18:19], exec, s[18:19]
; %bb.565:                              ;   in Loop: Header=BB0_299 Depth=3
	v_cmp_lt_u64_e32 vcc, s[58:59], v[27:28]
	v_add_u32_e32 v4, 7, v23
	v_cndmask_b32_e32 v4, v20, v4, vcc
	v_cndmask_b32_e64 v20, 0, 1, vcc
	v_lshrrev_b64 v[27:28], v20, v[27:28]
; %bb.566:                              ;   in Loop: Header=BB0_299 Depth=3
	s_andn2_saveexec_b64 s[18:19], s[18:19]
; %bb.567:                              ;   in Loop: Header=BB0_299 Depth=3
	v_bfe_u32 v4, v27, 23, 1
; %bb.568:                              ;   in Loop: Header=BB0_299 Depth=3
	s_or_b64 exec, exec, s[18:19]
	v_lshrrev_b64 v[23:24], 20, v[27:28]
	v_cmp_gt_i32_e32 vcc, 16, v4
	v_cndmask_b32_e32 v24, 0, v24, vcc
	v_cndmask_b32_e32 v23, 7, v23, vcc
	v_cmp_eq_u32_e32 vcc, 0, v4
	v_min_i32_e32 v4, 15, v4
	v_cmp_eq_u64_e64 s[18:19], 0, v[23:24]
	v_lshlrev_b32_e32 v4, 3, v4
	v_and_b32_e32 v4, 0xf8, v4
	v_and_or_b32 v4, v23, 7, v4
	s_and_b64 s[18:19], vcc, s[18:19]
	v_cndmask_b32_e64 v4, v4, 0, s[18:19]
	v_or_b32_e32 v42, v4, v0
.LBB0_569:                              ;   in Loop: Header=BB0_299 Depth=3
	s_or_b64 exec, exec, s[76:77]
                                        ; implicit-def: $vgpr0
.LBB0_570:                              ;   in Loop: Header=BB0_299 Depth=3
	s_andn2_saveexec_b64 s[18:19], s[74:75]
; %bb.571:                              ;   in Loop: Header=BB0_299 Depth=3
	v_or_b32_e32 v42, 0x7e, v0
; %bb.572:                              ;   in Loop: Header=BB0_299 Depth=3
	s_or_b64 exec, exec, s[18:19]
                                        ; implicit-def: $vgpr4
.LBB0_573:                              ;   in Loop: Header=BB0_299 Depth=3
	s_andn2_saveexec_b64 s[18:19], s[72:73]
; %bb.574:                              ;   in Loop: Header=BB0_299 Depth=3
	v_or_b32_sdwa v42, v4, s37 dst_sel:DWORD dst_unused:UNUSED_PAD src0_sel:BYTE_3 src1_sel:DWORD
; %bb.575:                              ;   in Loop: Header=BB0_299 Depth=3
	s_or_b64 exec, exec, s[18:19]
	v_cmp_lt_u32_e32 vcc, s39, v19
	v_mov_b32_e32 v4, 0
	v_mov_b32_e32 v20, 0
	s_and_saveexec_b64 s[18:19], vcc
	s_cbranch_execz .LBB0_581
; %bb.576:                              ;   in Loop: Header=BB0_299 Depth=3
	v_lshrrev_b32_e32 v0, 24, v19
	v_cmp_ne_u32_e32 vcc, s36, v0
	v_bfrev_b32_e32 v20, 1
	s_and_saveexec_b64 s[72:73], vcc
	s_cbranch_execz .LBB0_580
; %bb.577:                              ;   in Loop: Header=BB0_299 Depth=3
	v_bfe_u32 v19, v19, 24, 7
	v_cmp_ne_u32_e32 vcc, s37, v19
	v_mov_b32_e32 v20, 0x7f800001
	s_and_saveexec_b64 s[74:75], vcc
	s_cbranch_execz .LBB0_579
; %bb.578:                              ;   in Loop: Header=BB0_299 Depth=3
	v_and_b32_e32 v23, 7, v0
	v_lshrrev_b32_e32 v24, 3, v19
	v_cmp_gt_u32_e32 vcc, 8, v19
	v_ffbh_u32_e32 v19, v23
	v_min_u32_e32 v27, 32, v19
	v_subrev_u32_e32 v19, 28, v27
	v_lshlrev_b64 v[19:20], v19, v[0:1]
	v_sub_u32_e32 v20, 29, v27
	v_and_b32_e32 v19, 7, v19
	v_cndmask_b32_e32 v20, v24, v20, vcc
	v_cndmask_b32_e32 v19, v23, v19, vcc
	v_lshlrev_b32_e32 v0, 24, v0
	v_lshlrev_b32_e32 v19, 20, v19
	v_and_b32_e32 v0, 0x80000000, v0
	v_lshl_add_u32 v20, v20, 23, v7
	v_or3_b32 v20, v0, v20, v19
.LBB0_579:                              ;   in Loop: Header=BB0_299 Depth=3
	s_or_b64 exec, exec, s[74:75]
.LBB0_580:                              ;   in Loop: Header=BB0_299 Depth=3
	s_or_b64 exec, exec, s[72:73]
.LBB0_581:                              ;   in Loop: Header=BB0_299 Depth=3
	s_or_b64 exec, exec, s[18:19]
	v_cmp_lt_u32_e32 vcc, s39, v40
	s_and_saveexec_b64 s[18:19], vcc
	s_cbranch_execz .LBB0_587
; %bb.582:                              ;   in Loop: Header=BB0_299 Depth=3
	v_lshrrev_b32_e32 v0, 24, v40
	v_cmp_ne_u32_e32 vcc, s36, v0
	v_bfrev_b32_e32 v4, 1
	s_and_saveexec_b64 s[72:73], vcc
	s_cbranch_execz .LBB0_586
; %bb.583:                              ;   in Loop: Header=BB0_299 Depth=3
	v_bfe_u32 v19, v40, 24, 7
	v_cmp_ne_u32_e32 vcc, s37, v19
	v_mov_b32_e32 v4, 0x7f800001
	s_and_saveexec_b64 s[74:75], vcc
	s_cbranch_execz .LBB0_585
; %bb.584:                              ;   in Loop: Header=BB0_299 Depth=3
	v_and_b32_e32 v4, 7, v0
	v_lshrrev_b32_e32 v27, 3, v19
	v_cmp_gt_u32_e32 vcc, 8, v19
	v_ffbh_u32_e32 v19, v4
	v_min_u32_e32 v19, 32, v19
	v_subrev_u32_e32 v23, 28, v19
	v_lshlrev_b64 v[23:24], v23, v[0:1]
	v_sub_u32_e32 v19, 29, v19
	v_and_b32_e32 v23, 7, v23
	v_cndmask_b32_e32 v19, v27, v19, vcc
	v_cndmask_b32_e32 v4, v4, v23, vcc
	v_lshlrev_b32_e32 v0, 24, v0
	v_lshlrev_b32_e32 v4, 20, v4
	v_and_b32_e32 v0, 0x80000000, v0
	v_lshl_add_u32 v19, v19, 23, v7
	v_or3_b32 v4, v0, v19, v4
.LBB0_585:                              ;   in Loop: Header=BB0_299 Depth=3
	s_or_b64 exec, exec, s[74:75]
.LBB0_586:                              ;   in Loop: Header=BB0_299 Depth=3
	s_or_b64 exec, exec, s[72:73]
.LBB0_587:                              ;   in Loop: Header=BB0_299 Depth=3
	s_or_b64 exec, exec, s[18:19]
	v_add_f32_e32 v4, v20, v4
	v_and_b32_e32 v40, 0x7f800000, v4
	v_cmp_ne_u64_e32 vcc, s[46:47], v[40:41]
                                        ; implicit-def: $vgpr43
	s_and_saveexec_b64 s[18:19], vcc
	s_xor_b64 s[72:73], exec, s[18:19]
	s_cbranch_execz .LBB0_601
; %bb.588:                              ;   in Loop: Header=BB0_299 Depth=3
	v_and_b32_e32 v40, 0x7fffffff, v4
	v_cmp_gt_u64_e32 vcc, s[56:57], v[40:41]
	v_and_b32_sdwa v0, v4, s36 dst_sel:DWORD dst_unused:UNUSED_PAD src0_sel:BYTE_3 src1_sel:DWORD
                                        ; implicit-def: $vgpr43
	s_and_saveexec_b64 s[18:19], vcc
	s_xor_b64 s[74:75], exec, s[18:19]
	s_cbranch_execz .LBB0_598
; %bb.589:                              ;   in Loop: Header=BB0_299 Depth=3
	v_mov_b32_e32 v43, 0
	v_cmp_ne_u32_e32 vcc, 0, v4
	s_and_saveexec_b64 s[76:77], vcc
	s_cbranch_execz .LBB0_597
; %bb.590:                              ;   in Loop: Header=BB0_299 Depth=3
	v_and_b32_e32 v19, 0x7fffff, v4
	v_bfe_u32 v4, v4, 23, 8
	v_cmp_gt_u32_e64 s[18:19], s38, v4
	v_sub_u32_e32 v20, 0x79, v4
	v_cmp_eq_u32_e32 vcc, 0, v4
	v_cndmask_b32_e64 v20, 0, v20, s[18:19]
	v_or_b32_e32 v24, 0x800000, v19
	v_cndmask_b32_e32 v23, v20, v8, vcc
	v_cndmask_b32_e32 v40, v24, v19, vcc
	v_add_u32_e32 v19, 20, v23
	v_lshlrev_b64 v[19:20], v19, -1
	v_add_u32_e32 v24, 19, v23
	v_lshlrev_b64 v[27:28], v24, 1
	v_bfi_b32 v20, v20, 0, 0
	v_bfi_b32 v19, v19, 0, v40
	v_cmp_eq_u64_e64 s[18:19], v[19:20], v[27:28]
	v_lshrrev_b64 v[19:20], v23, v[40:41]
	v_mov_b32_e32 v28, v20
	v_mov_b32_e32 v27, v19
	s_and_saveexec_b64 s[78:79], s[18:19]
; %bb.591:                              ;   in Loop: Header=BB0_299 Depth=3
	v_bfe_u32 v20, v19, 20, 1
	v_add_co_u32_e64 v20, s[18:19], v19, v20
	v_add_co_u32_e64 v27, s[18:19], -1, v20
; %bb.592:                              ;   in Loop: Header=BB0_299 Depth=3
	s_or_b64 exec, exec, s[78:79]
	v_add_u32_e32 v4, 0xffffff81, v4
	v_cndmask_b32_e32 v4, v4, v54, vcc
	v_lshrrev_b32_e32 v20, 23, v19
	v_add3_u32 v24, v23, v4, v20
	v_add_u32_e32 v23, 6, v24
	v_and_b32_e32 v4, 0xfffff, v27
	v_add_u32_e32 v40, v4, v19
	v_cmp_ne_u32_e32 vcc, 0, v23
                                        ; implicit-def: $vgpr19_vgpr20
                                        ; implicit-def: $vgpr4
	s_and_saveexec_b64 s[18:19], vcc
	s_xor_b64 s[18:19], exec, s[18:19]
; %bb.593:                              ;   in Loop: Header=BB0_299 Depth=3
	v_cmp_lt_u64_e32 vcc, s[58:59], v[40:41]
	v_add_u32_e32 v4, 7, v24
	v_cndmask_b32_e64 v19, 0, 1, vcc
	v_cndmask_b32_e32 v4, v23, v4, vcc
	v_lshrrev_b64 v[19:20], v19, v[40:41]
; %bb.594:                              ;   in Loop: Header=BB0_299 Depth=3
	s_andn2_saveexec_b64 s[18:19], s[18:19]
; %bb.595:                              ;   in Loop: Header=BB0_299 Depth=3
	v_mov_b32_e32 v19, v40
	v_bfe_u32 v4, v40, 23, 1
	v_mov_b32_e32 v20, v41
; %bb.596:                              ;   in Loop: Header=BB0_299 Depth=3
	s_or_b64 exec, exec, s[18:19]
	v_lshrrev_b64 v[19:20], 20, v[19:20]
	v_cmp_gt_i32_e32 vcc, 16, v4
	v_cndmask_b32_e32 v20, 0, v20, vcc
	v_cndmask_b32_e32 v19, 7, v19, vcc
	v_cmp_eq_u32_e32 vcc, 0, v4
	v_min_i32_e32 v4, 15, v4
	v_cmp_eq_u64_e64 s[18:19], 0, v[19:20]
	v_lshlrev_b32_e32 v4, 3, v4
	v_and_b32_e32 v4, 0xf8, v4
	v_and_or_b32 v4, v19, 7, v4
	s_and_b64 s[18:19], vcc, s[18:19]
	v_cndmask_b32_e64 v4, v4, 0, s[18:19]
	v_or_b32_e32 v43, v4, v0
.LBB0_597:                              ;   in Loop: Header=BB0_299 Depth=3
	s_or_b64 exec, exec, s[76:77]
                                        ; implicit-def: $vgpr0
.LBB0_598:                              ;   in Loop: Header=BB0_299 Depth=3
	s_andn2_saveexec_b64 s[18:19], s[74:75]
; %bb.599:                              ;   in Loop: Header=BB0_299 Depth=3
	v_or_b32_e32 v43, 0x7e, v0
; %bb.600:                              ;   in Loop: Header=BB0_299 Depth=3
	s_or_b64 exec, exec, s[18:19]
                                        ; implicit-def: $vgpr4
.LBB0_601:                              ;   in Loop: Header=BB0_299 Depth=3
	s_andn2_saveexec_b64 s[18:19], s[72:73]
; %bb.602:                              ;   in Loop: Header=BB0_299 Depth=3
	v_or_b32_sdwa v43, v4, s37 dst_sel:DWORD dst_unused:UNUSED_PAD src0_sel:BYTE_3 src1_sel:DWORD
; %bb.603:                              ;   in Loop: Header=BB0_299 Depth=3
	s_or_b64 exec, exec, s[18:19]
	v_cmp_ne_u16_sdwa s[72:73], v21, v41 src0_sel:BYTE_0 src1_sel:DWORD
	v_mov_b32_e32 v0, 0
	v_mov_b32_e32 v4, 0
	s_and_saveexec_b64 s[18:19], s[72:73]
	s_cbranch_execz .LBB0_609
; %bb.604:                              ;   in Loop: Header=BB0_299 Depth=3
	v_cmp_ne_u16_sdwa s[74:75], v21, s36 src0_sel:BYTE_0 src1_sel:DWORD
	v_bfrev_b32_e32 v4, 1
	s_and_saveexec_b64 s[72:73], s[74:75]
	s_cbranch_execz .LBB0_608
; %bb.605:                              ;   in Loop: Header=BB0_299 Depth=3
	v_and_b32_e32 v19, 0x7f, v21
	v_cmp_ne_u32_e32 vcc, s37, v19
	v_mov_b32_e32 v4, 0x7f800001
	s_and_saveexec_b64 s[74:75], vcc
	s_cbranch_execz .LBB0_607
; %bb.606:                              ;   in Loop: Header=BB0_299 Depth=3
	v_and_b32_e32 v4, 7, v21
	v_ffbh_u32_e32 v4, v4
	v_min_u32_e32 v4, 32, v4
	v_lshrrev_b32_e32 v20, 3, v19
	v_cmp_gt_u32_e32 vcc, 8, v19
	v_subrev_u32_e32 v19, 28, v4
	v_sub_u32_e32 v4, 29, v4
	v_cndmask_b32_e32 v19, 0, v19, vcc
	v_cndmask_b32_e32 v4, v20, v4, vcc
	v_lshlrev_b64 v[19:20], v19, v[21:22]
	v_lshlrev_b32_e32 v20, 24, v21
	v_lshlrev_b32_e32 v19, 20, v19
	v_and_b32_e32 v19, 0x700000, v19
	v_and_b32_e32 v20, 0x80000000, v20
	v_lshl_add_u32 v4, v4, 23, v7
	v_or3_b32 v4, v20, v4, v19
.LBB0_607:                              ;   in Loop: Header=BB0_299 Depth=3
	s_or_b64 exec, exec, s[74:75]
.LBB0_608:                              ;   in Loop: Header=BB0_299 Depth=3
	s_or_b64 exec, exec, s[72:73]
.LBB0_609:                              ;   in Loop: Header=BB0_299 Depth=3
	s_or_b64 exec, exec, s[18:19]
	v_lshlrev_b32_e32 v19, 24, v57
	v_lshlrev_b32_e32 v20, 16, v31
	v_lshl_or_b32 v22, v45, 8, v59
	v_or3_b32 v40, v20, v19, v22
	v_cmp_ne_u32_e32 vcc, 0, v59
	s_and_saveexec_b64 s[18:19], vcc
	s_cbranch_execz .LBB0_615
; %bb.610:                              ;   in Loop: Header=BB0_299 Depth=3
	v_cmp_ne_u32_e32 vcc, s36, v59
	v_bfrev_b32_e32 v0, 1
	s_and_saveexec_b64 s[72:73], vcc
	s_cbranch_execz .LBB0_614
; %bb.611:                              ;   in Loop: Header=BB0_299 Depth=3
	v_and_b32_e32 v19, 0x7f, v59
	v_cmp_ne_u32_e32 vcc, s37, v19
	v_mov_b32_e32 v0, 0x7f800001
	s_and_saveexec_b64 s[74:75], vcc
	s_cbranch_execz .LBB0_613
; %bb.612:                              ;   in Loop: Header=BB0_299 Depth=3
	v_and_b32_e32 v0, 7, v59
	v_ffbh_u32_e32 v0, v0
	v_min_u32_e32 v0, 32, v0
	v_lshrrev_b32_e32 v20, 3, v19
	v_cmp_gt_u32_e32 vcc, 8, v19
	v_subrev_u32_e32 v19, 28, v0
	v_sub_u32_e32 v0, 29, v0
	v_cndmask_b32_e32 v19, 0, v19, vcc
	v_cndmask_b32_e32 v0, v20, v0, vcc
	v_lshlrev_b64 v[19:20], v19, v[40:41]
	v_lshlrev_b32_e32 v20, 24, v40
	v_lshlrev_b32_e32 v19, 20, v19
	v_and_b32_e32 v19, 0x700000, v19
	v_and_b32_e32 v20, 0x80000000, v20
	v_lshl_add_u32 v0, v0, 23, v7
	v_or3_b32 v0, v20, v0, v19
.LBB0_613:                              ;   in Loop: Header=BB0_299 Depth=3
	s_or_b64 exec, exec, s[74:75]
.LBB0_614:                              ;   in Loop: Header=BB0_299 Depth=3
	s_or_b64 exec, exec, s[72:73]
.LBB0_615:                              ;   in Loop: Header=BB0_299 Depth=3
	s_or_b64 exec, exec, s[18:19]
	v_add_f32_e32 v19, v4, v0
	v_and_b32_e32 v23, 0x7f800000, v19
	v_mov_b32_e32 v24, v41
	v_cmp_ne_u64_e32 vcc, s[46:47], v[23:24]
                                        ; implicit-def: $vgpr4
	s_and_saveexec_b64 s[18:19], vcc
	s_xor_b64 s[72:73], exec, s[18:19]
	s_cbranch_execz .LBB0_629
; %bb.616:                              ;   in Loop: Header=BB0_299 Depth=3
	v_and_b32_e32 v23, 0x7fffffff, v19
	v_mov_b32_e32 v24, v41
	v_cmp_gt_u64_e32 vcc, s[56:57], v[23:24]
	v_and_b32_sdwa v0, v19, s36 dst_sel:DWORD dst_unused:UNUSED_PAD src0_sel:BYTE_3 src1_sel:DWORD
                                        ; implicit-def: $vgpr4
	s_and_saveexec_b64 s[18:19], vcc
	s_xor_b64 s[74:75], exec, s[18:19]
	s_cbranch_execz .LBB0_626
; %bb.617:                              ;   in Loop: Header=BB0_299 Depth=3
	v_mov_b32_e32 v4, 0
	v_cmp_ne_u32_e32 vcc, 0, v19
	s_and_saveexec_b64 s[76:77], vcc
	s_cbranch_execz .LBB0_625
; %bb.618:                              ;   in Loop: Header=BB0_299 Depth=3
	v_bfe_u32 v4, v19, 23, 8
	v_and_b32_e32 v20, 0x7fffff, v19
	v_cmp_gt_u32_e64 s[18:19], s38, v4
	v_sub_u32_e32 v19, 0x79, v4
	v_cmp_eq_u32_e32 vcc, 0, v4
	v_cndmask_b32_e64 v19, 0, v19, s[18:19]
	v_or_b32_e32 v24, 0x800000, v20
	v_cndmask_b32_e32 v23, v19, v8, vcc
	v_cndmask_b32_e32 v19, v24, v20, vcc
	v_add_u32_e32 v24, 20, v23
	v_lshlrev_b64 v[27:28], v24, -1
	v_mov_b32_e32 v20, v41
	v_add_u32_e32 v24, 19, v23
	v_bfi_b32 v27, v27, 0, v19
	v_lshlrev_b64 v[56:57], v24, 1
	v_lshrrev_b64 v[19:20], v23, v[19:20]
	v_bfi_b32 v28, v28, 0, 0
	v_cmp_eq_u64_e64 s[18:19], v[27:28], v[56:57]
	v_mov_b32_e32 v28, v20
	v_mov_b32_e32 v27, v19
	s_and_saveexec_b64 s[78:79], s[18:19]
; %bb.619:                              ;   in Loop: Header=BB0_299 Depth=3
	v_bfe_u32 v20, v19, 20, 1
	v_add_co_u32_e64 v20, s[18:19], v19, v20
	v_add_co_u32_e64 v27, s[18:19], -1, v20
; %bb.620:                              ;   in Loop: Header=BB0_299 Depth=3
	s_or_b64 exec, exec, s[78:79]
	v_add_u32_e32 v4, 0xffffff81, v4
	v_cndmask_b32_e32 v4, v4, v54, vcc
	v_lshrrev_b32_e32 v20, 23, v19
	v_add3_u32 v24, v23, v4, v20
	v_add_u32_e32 v23, 6, v24
	v_and_b32_e32 v4, 0xfffff, v27
	v_add_u32_e32 v19, v4, v19
	v_mov_b32_e32 v20, v41
	v_cmp_ne_u32_e32 vcc, 0, v23
                                        ; implicit-def: $vgpr4
	s_and_saveexec_b64 s[18:19], vcc
	s_xor_b64 s[18:19], exec, s[18:19]
; %bb.621:                              ;   in Loop: Header=BB0_299 Depth=3
	v_cmp_lt_u64_e32 vcc, s[58:59], v[19:20]
	v_add_u32_e32 v4, 7, v24
	v_cndmask_b32_e32 v4, v23, v4, vcc
	v_cndmask_b32_e64 v23, 0, 1, vcc
	v_lshrrev_b64 v[19:20], v23, v[19:20]
; %bb.622:                              ;   in Loop: Header=BB0_299 Depth=3
	s_andn2_saveexec_b64 s[18:19], s[18:19]
; %bb.623:                              ;   in Loop: Header=BB0_299 Depth=3
	v_bfe_u32 v4, v19, 23, 1
; %bb.624:                              ;   in Loop: Header=BB0_299 Depth=3
	s_or_b64 exec, exec, s[18:19]
	v_lshrrev_b64 v[19:20], 20, v[19:20]
	v_cmp_gt_i32_e32 vcc, 16, v4
	v_cndmask_b32_e32 v20, 0, v20, vcc
	v_cndmask_b32_e32 v19, 7, v19, vcc
	v_cmp_eq_u32_e32 vcc, 0, v4
	v_min_i32_e32 v4, 15, v4
	v_cmp_eq_u64_e64 s[18:19], 0, v[19:20]
	v_lshlrev_b32_e32 v4, 3, v4
	v_and_b32_e32 v4, 0xf8, v4
	v_and_or_b32 v4, v19, 7, v4
	s_and_b64 s[18:19], vcc, s[18:19]
	v_cndmask_b32_e64 v4, v4, 0, s[18:19]
	v_or_b32_e32 v4, v4, v0
.LBB0_625:                              ;   in Loop: Header=BB0_299 Depth=3
	s_or_b64 exec, exec, s[76:77]
                                        ; implicit-def: $vgpr0
.LBB0_626:                              ;   in Loop: Header=BB0_299 Depth=3
	s_andn2_saveexec_b64 s[18:19], s[74:75]
; %bb.627:                              ;   in Loop: Header=BB0_299 Depth=3
	v_or_b32_e32 v4, 0x7e, v0
; %bb.628:                              ;   in Loop: Header=BB0_299 Depth=3
	s_or_b64 exec, exec, s[18:19]
                                        ; implicit-def: $vgpr19
.LBB0_629:                              ;   in Loop: Header=BB0_299 Depth=3
	s_andn2_saveexec_b64 s[18:19], s[72:73]
; %bb.630:                              ;   in Loop: Header=BB0_299 Depth=3
	v_or_b32_sdwa v4, v19, s37 dst_sel:DWORD dst_unused:UNUSED_PAD src0_sel:BYTE_3 src1_sel:DWORD
; %bb.631:                              ;   in Loop: Header=BB0_299 Depth=3
	s_or_b64 exec, exec, s[18:19]
	v_lshrrev_b16_e32 v0, 8, v21
	v_cmp_ne_u16_e32 vcc, 0, v0
	v_mov_b32_e32 v19, 0
	v_mov_b32_e32 v20, 0
	s_and_saveexec_b64 s[18:19], vcc
	s_cbranch_execz .LBB0_637
; %bb.632:                              ;   in Loop: Header=BB0_299 Depth=3
	v_cmp_ne_u16_e32 vcc, s36, v0
	v_bfrev_b32_e32 v20, 1
	s_and_saveexec_b64 s[72:73], vcc
	s_cbranch_execz .LBB0_636
; %bb.633:                              ;   in Loop: Header=BB0_299 Depth=3
	v_and_b32_e32 v23, 0x7f, v0
	v_cmp_ne_u32_e32 vcc, s37, v23
	v_mov_b32_e32 v20, 0x7f800001
	s_and_saveexec_b64 s[74:75], vcc
	s_cbranch_execz .LBB0_635
; %bb.634:                              ;   in Loop: Header=BB0_299 Depth=3
	v_and_b32_e32 v20, 7, v0
	v_lshrrev_b32_e32 v27, 3, v23
	v_cmp_gt_u32_e32 vcc, 8, v23
	v_ffbh_u32_e32 v23, v20
	v_min_u32_e32 v28, 32, v23
	v_subrev_u32_e32 v23, 28, v28
	v_lshlrev_b64 v[23:24], v23, v[0:1]
	v_sub_u32_e32 v0, 29, v28
	v_and_b32_e32 v23, 7, v23
	v_cndmask_b32_e32 v0, v27, v0, vcc
	v_cndmask_b32_e32 v20, v20, v23, vcc
	v_lshlrev_b32_e32 v23, 16, v21
	v_lshlrev_b32_e32 v20, 20, v20
	v_and_b32_e32 v23, 0x80000000, v23
	v_lshl_add_u32 v0, v0, 23, v7
	v_or3_b32 v20, v23, v0, v20
.LBB0_635:                              ;   in Loop: Header=BB0_299 Depth=3
	s_or_b64 exec, exec, s[74:75]
.LBB0_636:                              ;   in Loop: Header=BB0_299 Depth=3
	s_or_b64 exec, exec, s[72:73]
.LBB0_637:                              ;   in Loop: Header=BB0_299 Depth=3
	s_or_b64 exec, exec, s[18:19]
	v_lshrrev_b16_e32 v0, 8, v22
	v_cmp_ne_u16_e32 vcc, 0, v0
	s_and_saveexec_b64 s[18:19], vcc
	s_cbranch_execz .LBB0_643
; %bb.638:                              ;   in Loop: Header=BB0_299 Depth=3
	v_cmp_ne_u16_e32 vcc, s36, v0
	v_bfrev_b32_e32 v19, 1
	s_and_saveexec_b64 s[72:73], vcc
	s_cbranch_execz .LBB0_642
; %bb.639:                              ;   in Loop: Header=BB0_299 Depth=3
	v_and_b32_e32 v23, 0x7f, v0
	v_cmp_ne_u32_e32 vcc, s37, v23
	v_mov_b32_e32 v19, 0x7f800001
	s_and_saveexec_b64 s[74:75], vcc
	s_cbranch_execz .LBB0_641
; %bb.640:                              ;   in Loop: Header=BB0_299 Depth=3
	v_and_b32_e32 v19, 7, v0
	v_lshrrev_b32_e32 v27, 3, v23
	v_cmp_gt_u32_e32 vcc, 8, v23
	v_ffbh_u32_e32 v23, v19
	v_min_u32_e32 v28, 32, v23
	v_subrev_u32_e32 v23, 28, v28
	v_lshlrev_b64 v[23:24], v23, v[0:1]
	v_sub_u32_e32 v0, 29, v28
	v_and_b32_e32 v23, 7, v23
	v_cndmask_b32_e32 v0, v27, v0, vcc
	v_cndmask_b32_e32 v19, v19, v23, vcc
	v_lshlrev_b32_e32 v22, 16, v22
	v_lshlrev_b32_e32 v19, 20, v19
	v_and_b32_e32 v22, 0x80000000, v22
	v_lshl_add_u32 v0, v0, 23, v7
	v_or3_b32 v19, v22, v0, v19
.LBB0_641:                              ;   in Loop: Header=BB0_299 Depth=3
	s_or_b64 exec, exec, s[74:75]
.LBB0_642:                              ;   in Loop: Header=BB0_299 Depth=3
	s_or_b64 exec, exec, s[72:73]
.LBB0_643:                              ;   in Loop: Header=BB0_299 Depth=3
	s_or_b64 exec, exec, s[18:19]
	v_add_f32_e32 v19, v20, v19
	v_and_b32_e32 v22, 0x7f800000, v19
	v_mov_b32_e32 v23, v41
	v_cmp_ne_u64_e32 vcc, s[46:47], v[22:23]
                                        ; implicit-def: $vgpr22
	s_and_saveexec_b64 s[18:19], vcc
	s_xor_b64 s[72:73], exec, s[18:19]
	s_cbranch_execz .LBB0_657
; %bb.644:                              ;   in Loop: Header=BB0_299 Depth=3
	v_and_b32_e32 v22, 0x7fffffff, v19
	v_mov_b32_e32 v23, v41
	v_cmp_gt_u64_e32 vcc, s[56:57], v[22:23]
	v_and_b32_sdwa v0, v19, s36 dst_sel:DWORD dst_unused:UNUSED_PAD src0_sel:BYTE_3 src1_sel:DWORD
                                        ; implicit-def: $vgpr22
	s_and_saveexec_b64 s[18:19], vcc
	s_xor_b64 s[74:75], exec, s[18:19]
	s_cbranch_execz .LBB0_654
; %bb.645:                              ;   in Loop: Header=BB0_299 Depth=3
	v_mov_b32_e32 v22, 0
	v_cmp_ne_u32_e32 vcc, 0, v19
	s_and_saveexec_b64 s[76:77], vcc
	s_cbranch_execz .LBB0_653
; %bb.646:                              ;   in Loop: Header=BB0_299 Depth=3
	v_bfe_u32 v22, v19, 23, 8
	v_and_b32_e32 v20, 0x7fffff, v19
	v_cmp_gt_u32_e64 s[18:19], s38, v22
	v_sub_u32_e32 v19, 0x79, v22
	v_cmp_eq_u32_e32 vcc, 0, v22
	v_cndmask_b32_e64 v19, 0, v19, s[18:19]
	v_or_b32_e32 v24, 0x800000, v20
	v_cndmask_b32_e32 v23, v19, v8, vcc
	v_cndmask_b32_e32 v19, v24, v20, vcc
	v_add_u32_e32 v24, 20, v23
	v_lshlrev_b64 v[27:28], v24, -1
	v_mov_b32_e32 v20, v41
	v_add_u32_e32 v24, 19, v23
	v_bfi_b32 v27, v27, 0, v19
	v_lshlrev_b64 v[56:57], v24, 1
	v_lshrrev_b64 v[19:20], v23, v[19:20]
	v_bfi_b32 v28, v28, 0, 0
	v_cmp_eq_u64_e64 s[18:19], v[27:28], v[56:57]
	v_mov_b32_e32 v28, v20
	v_mov_b32_e32 v27, v19
	s_and_saveexec_b64 s[78:79], s[18:19]
; %bb.647:                              ;   in Loop: Header=BB0_299 Depth=3
	v_bfe_u32 v20, v19, 20, 1
	v_add_co_u32_e64 v20, s[18:19], v19, v20
	v_add_co_u32_e64 v27, s[18:19], -1, v20
; %bb.648:                              ;   in Loop: Header=BB0_299 Depth=3
	s_or_b64 exec, exec, s[78:79]
	v_add_u32_e32 v20, 0xffffff81, v22
	v_cndmask_b32_e32 v20, v20, v54, vcc
	v_lshrrev_b32_e32 v22, 23, v19
	v_add3_u32 v24, v23, v20, v22
	v_add_u32_e32 v23, 6, v24
	v_and_b32_e32 v20, 0xfffff, v27
	v_add_u32_e32 v19, v20, v19
	v_mov_b32_e32 v20, v41
	v_cmp_ne_u32_e32 vcc, 0, v23
                                        ; implicit-def: $vgpr22
	s_and_saveexec_b64 s[18:19], vcc
	s_xor_b64 s[18:19], exec, s[18:19]
; %bb.649:                              ;   in Loop: Header=BB0_299 Depth=3
	v_cmp_lt_u64_e32 vcc, s[58:59], v[19:20]
	v_add_u32_e32 v22, 7, v24
	v_cndmask_b32_e32 v22, v23, v22, vcc
	v_cndmask_b32_e64 v23, 0, 1, vcc
	v_lshrrev_b64 v[19:20], v23, v[19:20]
; %bb.650:                              ;   in Loop: Header=BB0_299 Depth=3
	s_andn2_saveexec_b64 s[18:19], s[18:19]
; %bb.651:                              ;   in Loop: Header=BB0_299 Depth=3
	v_bfe_u32 v22, v19, 23, 1
; %bb.652:                              ;   in Loop: Header=BB0_299 Depth=3
	s_or_b64 exec, exec, s[18:19]
	v_lshrrev_b64 v[19:20], 20, v[19:20]
	v_cmp_gt_i32_e32 vcc, 16, v22
	v_cndmask_b32_e32 v20, 0, v20, vcc
	v_cndmask_b32_e32 v19, 7, v19, vcc
	v_cmp_eq_u64_e64 s[18:19], 0, v[19:20]
	v_min_i32_e32 v20, 15, v22
	v_lshlrev_b32_e32 v20, 3, v20
	v_cmp_eq_u32_e32 vcc, 0, v22
	v_and_b32_e32 v20, 0xf8, v20
	v_and_or_b32 v19, v19, 7, v20
	s_and_b64 s[18:19], vcc, s[18:19]
	v_cndmask_b32_e64 v19, v19, 0, s[18:19]
	v_or_b32_e32 v22, v19, v0
.LBB0_653:                              ;   in Loop: Header=BB0_299 Depth=3
	s_or_b64 exec, exec, s[76:77]
                                        ; implicit-def: $vgpr0
.LBB0_654:                              ;   in Loop: Header=BB0_299 Depth=3
	s_andn2_saveexec_b64 s[18:19], s[74:75]
; %bb.655:                              ;   in Loop: Header=BB0_299 Depth=3
	v_or_b32_e32 v22, 0x7e, v0
; %bb.656:                              ;   in Loop: Header=BB0_299 Depth=3
	s_or_b64 exec, exec, s[18:19]
                                        ; implicit-def: $vgpr19
.LBB0_657:                              ;   in Loop: Header=BB0_299 Depth=3
	s_andn2_saveexec_b64 s[18:19], s[72:73]
; %bb.658:                              ;   in Loop: Header=BB0_299 Depth=3
	v_or_b32_sdwa v22, v19, s37 dst_sel:DWORD dst_unused:UNUSED_PAD src0_sel:BYTE_3 src1_sel:DWORD
; %bb.659:                              ;   in Loop: Header=BB0_299 Depth=3
	s_or_b64 exec, exec, s[18:19]
	v_lshrrev_b32_e32 v0, 16, v21
	v_cmp_ne_u16_sdwa s[72:73], v0, v41 src0_sel:BYTE_0 src1_sel:DWORD
	v_mov_b32_e32 v19, 0
	v_mov_b32_e32 v20, 0
	s_and_saveexec_b64 s[18:19], s[72:73]
	s_cbranch_execz .LBB0_665
; %bb.660:                              ;   in Loop: Header=BB0_299 Depth=3
	v_cmp_ne_u16_sdwa s[74:75], v0, s36 src0_sel:BYTE_0 src1_sel:DWORD
	v_bfrev_b32_e32 v20, 1
	s_and_saveexec_b64 s[72:73], s[74:75]
	s_cbranch_execz .LBB0_664
; %bb.661:                              ;   in Loop: Header=BB0_299 Depth=3
	v_bfe_u32 v23, v21, 16, 7
	v_cmp_ne_u32_e32 vcc, s37, v23
	v_mov_b32_e32 v20, 0x7f800001
	s_and_saveexec_b64 s[74:75], vcc
	s_cbranch_execz .LBB0_663
; %bb.662:                              ;   in Loop: Header=BB0_299 Depth=3
	v_and_b32_e32 v20, 7, v0
	v_lshrrev_b32_e32 v27, 3, v23
	v_cmp_gt_u32_e32 vcc, 8, v23
	v_ffbh_u32_e32 v23, v20
	v_min_u32_e32 v28, 32, v23
	v_subrev_u32_e32 v23, 28, v28
	v_lshlrev_b64 v[23:24], v23, v[0:1]
	v_sub_u32_e32 v24, 29, v28
	v_and_b32_e32 v23, 7, v23
	v_cndmask_b32_e32 v24, v27, v24, vcc
	v_cndmask_b32_e32 v20, v20, v23, vcc
	v_lshlrev_b32_e32 v0, 24, v0
	v_lshlrev_b32_e32 v20, 20, v20
	v_and_b32_e32 v0, 0x80000000, v0
	v_lshl_add_u32 v23, v24, 23, v7
	v_or3_b32 v20, v0, v23, v20
.LBB0_663:                              ;   in Loop: Header=BB0_299 Depth=3
	s_or_b64 exec, exec, s[74:75]
.LBB0_664:                              ;   in Loop: Header=BB0_299 Depth=3
	s_or_b64 exec, exec, s[72:73]
.LBB0_665:                              ;   in Loop: Header=BB0_299 Depth=3
	s_or_b64 exec, exec, s[18:19]
	v_lshrrev_b32_e32 v0, 16, v40
	v_cmp_ne_u16_sdwa s[72:73], v0, v41 src0_sel:BYTE_0 src1_sel:DWORD
	s_and_saveexec_b64 s[18:19], s[72:73]
	s_cbranch_execz .LBB0_671
; %bb.666:                              ;   in Loop: Header=BB0_299 Depth=3
	v_cmp_ne_u16_sdwa s[74:75], v0, s36 src0_sel:BYTE_0 src1_sel:DWORD
	v_bfrev_b32_e32 v19, 1
	s_and_saveexec_b64 s[72:73], s[74:75]
	s_cbranch_execz .LBB0_670
; %bb.667:                              ;   in Loop: Header=BB0_299 Depth=3
	v_bfe_u32 v23, v40, 16, 7
	v_cmp_ne_u32_e32 vcc, s37, v23
	v_mov_b32_e32 v19, 0x7f800001
	s_and_saveexec_b64 s[74:75], vcc
	s_cbranch_execz .LBB0_669
; %bb.668:                              ;   in Loop: Header=BB0_299 Depth=3
	v_and_b32_e32 v19, 7, v0
	v_lshrrev_b32_e32 v27, 3, v23
	v_cmp_gt_u32_e32 vcc, 8, v23
	v_ffbh_u32_e32 v23, v19
	v_min_u32_e32 v28, 32, v23
	v_subrev_u32_e32 v23, 28, v28
	v_lshlrev_b64 v[23:24], v23, v[0:1]
	v_sub_u32_e32 v0, 29, v28
	v_and_b32_e32 v23, 7, v23
	v_cndmask_b32_e32 v0, v27, v0, vcc
	v_cndmask_b32_e32 v19, v19, v23, vcc
	v_lshlrev_b32_e32 v23, 8, v40
	v_lshlrev_b32_e32 v19, 20, v19
	v_and_b32_e32 v23, 0x80000000, v23
	v_lshl_add_u32 v0, v0, 23, v7
	v_or3_b32 v19, v23, v0, v19
.LBB0_669:                              ;   in Loop: Header=BB0_299 Depth=3
	s_or_b64 exec, exec, s[74:75]
.LBB0_670:                              ;   in Loop: Header=BB0_299 Depth=3
	s_or_b64 exec, exec, s[72:73]
.LBB0_671:                              ;   in Loop: Header=BB0_299 Depth=3
	s_or_b64 exec, exec, s[18:19]
	v_add_f32_e32 v19, v20, v19
	v_and_b32_e32 v23, 0x7f800000, v19
	v_mov_b32_e32 v24, v41
	v_cmp_ne_u64_e32 vcc, s[46:47], v[23:24]
                                        ; implicit-def: $vgpr27
	s_and_saveexec_b64 s[18:19], vcc
	s_xor_b64 s[72:73], exec, s[18:19]
	s_cbranch_execz .LBB0_685
; %bb.672:                              ;   in Loop: Header=BB0_299 Depth=3
	v_and_b32_e32 v23, 0x7fffffff, v19
	v_mov_b32_e32 v24, v41
	v_cmp_gt_u64_e32 vcc, s[56:57], v[23:24]
	v_and_b32_sdwa v0, v19, s36 dst_sel:DWORD dst_unused:UNUSED_PAD src0_sel:BYTE_3 src1_sel:DWORD
                                        ; implicit-def: $vgpr27
	s_and_saveexec_b64 s[18:19], vcc
	s_xor_b64 s[74:75], exec, s[18:19]
	s_cbranch_execz .LBB0_682
; %bb.673:                              ;   in Loop: Header=BB0_299 Depth=3
	v_mov_b32_e32 v27, 0
	v_cmp_ne_u32_e32 vcc, 0, v19
	s_and_saveexec_b64 s[76:77], vcc
	s_cbranch_execz .LBB0_681
; %bb.674:                              ;   in Loop: Header=BB0_299 Depth=3
	v_bfe_u32 v31, v19, 23, 8
	v_and_b32_e32 v20, 0x7fffff, v19
	v_cmp_gt_u32_e64 s[18:19], s38, v31
	v_sub_u32_e32 v19, 0x79, v31
	v_cmp_eq_u32_e32 vcc, 0, v31
	v_cndmask_b32_e64 v19, 0, v19, s[18:19]
	v_or_b32_e32 v24, 0x800000, v20
	v_cndmask_b32_e32 v23, v19, v8, vcc
	v_cndmask_b32_e32 v19, v24, v20, vcc
	v_add_u32_e32 v24, 20, v23
	v_lshlrev_b64 v[27:28], v24, -1
	v_mov_b32_e32 v20, v41
	v_add_u32_e32 v24, 19, v23
	v_bfi_b32 v27, v27, 0, v19
	v_lshlrev_b64 v[56:57], v24, 1
	v_lshrrev_b64 v[19:20], v23, v[19:20]
	v_bfi_b32 v28, v28, 0, 0
	v_cmp_eq_u64_e64 s[18:19], v[27:28], v[56:57]
	v_mov_b32_e32 v28, v20
	v_mov_b32_e32 v27, v19
	s_and_saveexec_b64 s[78:79], s[18:19]
; %bb.675:                              ;   in Loop: Header=BB0_299 Depth=3
	v_bfe_u32 v20, v19, 20, 1
	v_add_co_u32_e64 v20, s[18:19], v19, v20
	v_add_co_u32_e64 v27, s[18:19], -1, v20
; %bb.676:                              ;   in Loop: Header=BB0_299 Depth=3
	s_or_b64 exec, exec, s[78:79]
	v_add_u32_e32 v20, 0xffffff81, v31
	v_cndmask_b32_e32 v20, v20, v54, vcc
	v_lshrrev_b32_e32 v24, 23, v19
	v_add3_u32 v24, v23, v20, v24
	v_add_u32_e32 v23, 6, v24
	v_and_b32_e32 v20, 0xfffff, v27
	v_add_u32_e32 v19, v20, v19
	v_mov_b32_e32 v20, v41
	v_cmp_ne_u32_e32 vcc, 0, v23
                                        ; implicit-def: $vgpr27
	s_and_saveexec_b64 s[18:19], vcc
	s_xor_b64 s[18:19], exec, s[18:19]
; %bb.677:                              ;   in Loop: Header=BB0_299 Depth=3
	v_cmp_lt_u64_e32 vcc, s[58:59], v[19:20]
	v_add_u32_e32 v24, 7, v24
	v_cndmask_b32_e32 v27, v23, v24, vcc
	v_cndmask_b32_e64 v23, 0, 1, vcc
	v_lshrrev_b64 v[19:20], v23, v[19:20]
; %bb.678:                              ;   in Loop: Header=BB0_299 Depth=3
	s_andn2_saveexec_b64 s[18:19], s[18:19]
; %bb.679:                              ;   in Loop: Header=BB0_299 Depth=3
	v_bfe_u32 v27, v19, 23, 1
; %bb.680:                              ;   in Loop: Header=BB0_299 Depth=3
	s_or_b64 exec, exec, s[18:19]
	v_lshrrev_b64 v[19:20], 20, v[19:20]
	v_cmp_gt_i32_e32 vcc, 16, v27
	v_cndmask_b32_e32 v20, 0, v20, vcc
	v_cndmask_b32_e32 v19, 7, v19, vcc
	v_cmp_eq_u64_e64 s[18:19], 0, v[19:20]
	v_min_i32_e32 v20, 15, v27
	v_lshlrev_b32_e32 v20, 3, v20
	v_cmp_eq_u32_e32 vcc, 0, v27
	v_and_b32_e32 v20, 0xf8, v20
	v_and_or_b32 v19, v19, 7, v20
	s_and_b64 s[18:19], vcc, s[18:19]
	v_cndmask_b32_e64 v19, v19, 0, s[18:19]
	v_or_b32_e32 v27, v19, v0
.LBB0_681:                              ;   in Loop: Header=BB0_299 Depth=3
	s_or_b64 exec, exec, s[76:77]
                                        ; implicit-def: $vgpr0
.LBB0_682:                              ;   in Loop: Header=BB0_299 Depth=3
	s_andn2_saveexec_b64 s[18:19], s[74:75]
; %bb.683:                              ;   in Loop: Header=BB0_299 Depth=3
	v_or_b32_e32 v27, 0x7e, v0
; %bb.684:                              ;   in Loop: Header=BB0_299 Depth=3
	s_or_b64 exec, exec, s[18:19]
                                        ; implicit-def: $vgpr19
.LBB0_685:                              ;   in Loop: Header=BB0_299 Depth=3
	s_andn2_saveexec_b64 s[18:19], s[72:73]
; %bb.686:                              ;   in Loop: Header=BB0_299 Depth=3
	v_or_b32_sdwa v27, v19, s37 dst_sel:DWORD dst_unused:UNUSED_PAD src0_sel:BYTE_3 src1_sel:DWORD
; %bb.687:                              ;   in Loop: Header=BB0_299 Depth=3
	s_or_b64 exec, exec, s[18:19]
	v_and_b32_e32 v19, 0xff000000, v21
	v_mov_b32_e32 v20, v41
	v_cmp_ne_u64_e32 vcc, 0, v[19:20]
	v_mov_b32_e32 v19, 0
	v_mov_b32_e32 v20, 0
	s_and_saveexec_b64 s[18:19], vcc
	s_cbranch_execz .LBB0_693
; %bb.688:                              ;   in Loop: Header=BB0_299 Depth=3
	v_lshrrev_b32_e32 v0, 24, v21
	v_cmp_ne_u32_e32 vcc, s36, v0
	v_bfrev_b32_e32 v20, 1
	s_and_saveexec_b64 s[72:73], vcc
	s_cbranch_execz .LBB0_692
; %bb.689:                              ;   in Loop: Header=BB0_299 Depth=3
	v_bfe_u32 v21, v21, 24, 7
	v_cmp_ne_u32_e32 vcc, s37, v21
	v_mov_b32_e32 v20, 0x7f800001
	s_and_saveexec_b64 s[74:75], vcc
	s_cbranch_execz .LBB0_691
; %bb.690:                              ;   in Loop: Header=BB0_299 Depth=3
	v_and_b32_e32 v23, 7, v0
	v_ffbh_u32_e32 v20, v23
	v_min_u32_e32 v28, 32, v20
	v_subrev_u32_e32 v20, 28, v28
	v_lshrrev_b32_e32 v24, 3, v21
	v_cmp_gt_u32_e32 vcc, 8, v21
	v_lshlrev_b64 v[20:21], v20, v[0:1]
	v_sub_u32_e32 v21, 29, v28
	v_and_b32_e32 v20, 7, v20
	v_cndmask_b32_e32 v21, v24, v21, vcc
	v_cndmask_b32_e32 v20, v23, v20, vcc
	v_lshlrev_b32_e32 v0, 24, v0
	v_lshlrev_b32_e32 v20, 20, v20
	v_and_b32_e32 v0, 0x80000000, v0
	v_lshl_add_u32 v21, v21, 23, v7
	v_or3_b32 v20, v0, v21, v20
.LBB0_691:                              ;   in Loop: Header=BB0_299 Depth=3
	s_or_b64 exec, exec, s[74:75]
.LBB0_692:                              ;   in Loop: Header=BB0_299 Depth=3
	s_or_b64 exec, exec, s[72:73]
.LBB0_693:                              ;   in Loop: Header=BB0_299 Depth=3
	s_or_b64 exec, exec, s[18:19]
	v_cmp_lt_u32_e32 vcc, s39, v40
	s_and_saveexec_b64 s[18:19], vcc
	s_cbranch_execz .LBB0_699
; %bb.694:                              ;   in Loop: Header=BB0_299 Depth=3
	v_lshrrev_b32_e32 v0, 24, v40
	v_cmp_ne_u32_sdwa s[74:75], v40, s36 src0_sel:BYTE_3 src1_sel:DWORD
	v_bfrev_b32_e32 v19, 1
	s_and_saveexec_b64 s[72:73], s[74:75]
	s_cbranch_execz .LBB0_698
; %bb.695:                              ;   in Loop: Header=BB0_299 Depth=3
	v_bfe_u32 v21, v40, 24, 7
	v_cmp_ne_u32_e32 vcc, s37, v21
	v_mov_b32_e32 v19, 0x7f800001
	s_and_saveexec_b64 s[74:75], vcc
	s_cbranch_execz .LBB0_697
; %bb.696:                              ;   in Loop: Header=BB0_299 Depth=3
	v_and_b32_e32 v19, 7, v0
	v_lshrrev_b32_e32 v28, 3, v21
	v_cmp_gt_u32_e32 vcc, 8, v21
	v_ffbh_u32_e32 v21, v19
	v_min_u32_e32 v21, 32, v21
	v_subrev_u32_e32 v23, 28, v21
	v_lshlrev_b64 v[23:24], v23, v[0:1]
	v_sub_u32_e32 v0, 29, v21
	v_and_b32_e32 v21, 7, v23
	v_cndmask_b32_e32 v0, v28, v0, vcc
	v_cndmask_b32_e32 v19, v19, v21, vcc
	v_lshlrev_b32_sdwa v21, v55, v40 dst_sel:DWORD dst_unused:UNUSED_PAD src0_sel:DWORD src1_sel:BYTE_3
	v_lshlrev_b32_e32 v19, 20, v19
	v_and_b32_e32 v21, 0x80000000, v21
	v_lshl_add_u32 v0, v0, 23, v7
	v_or3_b32 v19, v21, v0, v19
.LBB0_697:                              ;   in Loop: Header=BB0_299 Depth=3
	s_or_b64 exec, exec, s[74:75]
.LBB0_698:                              ;   in Loop: Header=BB0_299 Depth=3
	s_or_b64 exec, exec, s[72:73]
.LBB0_699:                              ;   in Loop: Header=BB0_299 Depth=3
	s_or_b64 exec, exec, s[18:19]
	v_add_f32_e32 v20, v20, v19
	v_and_b32_e32 v40, 0x7f800000, v20
	v_cmp_ne_u64_e32 vcc, s[46:47], v[40:41]
                                        ; implicit-def: $vgpr19
	s_and_saveexec_b64 s[18:19], vcc
	s_xor_b64 s[72:73], exec, s[18:19]
	s_cbranch_execz .LBB0_713
; %bb.700:                              ;   in Loop: Header=BB0_299 Depth=3
	v_and_b32_e32 v40, 0x7fffffff, v20
	v_cmp_gt_u64_e32 vcc, s[56:57], v[40:41]
	v_and_b32_sdwa v0, v20, s36 dst_sel:DWORD dst_unused:UNUSED_PAD src0_sel:BYTE_3 src1_sel:DWORD
                                        ; implicit-def: $vgpr19
	s_and_saveexec_b64 s[18:19], vcc
	s_xor_b64 s[74:75], exec, s[18:19]
	s_cbranch_execz .LBB0_710
; %bb.701:                              ;   in Loop: Header=BB0_299 Depth=3
	v_mov_b32_e32 v19, 0
	v_cmp_ne_u32_e32 vcc, 0, v20
	s_and_saveexec_b64 s[76:77], vcc
	s_cbranch_execz .LBB0_709
; %bb.702:                              ;   in Loop: Header=BB0_299 Depth=3
	v_bfe_u32 v28, v20, 23, 8
	v_and_b32_e32 v19, 0x7fffff, v20
	v_cmp_gt_u32_e64 s[18:19], s38, v28
	v_sub_u32_e32 v20, 0x79, v28
	v_cmp_eq_u32_e32 vcc, 0, v28
	v_cndmask_b32_e64 v20, 0, v20, s[18:19]
	v_or_b32_e32 v21, 0x800000, v19
	v_cndmask_b32_e32 v23, v20, v8, vcc
	v_cndmask_b32_e32 v40, v21, v19, vcc
	v_add_u32_e32 v19, 20, v23
	v_lshlrev_b64 v[19:20], v19, -1
	v_add_u32_e32 v21, 19, v23
	v_lshlrev_b64 v[56:57], v21, 1
	v_bfi_b32 v20, v20, 0, 0
	v_bfi_b32 v19, v19, 0, v40
	v_cmp_eq_u64_e64 s[18:19], v[19:20], v[56:57]
	v_lshrrev_b64 v[19:20], v23, v[40:41]
	v_mov_b32_e32 v21, v20
	v_mov_b32_e32 v20, v19
	s_and_saveexec_b64 s[78:79], s[18:19]
; %bb.703:                              ;   in Loop: Header=BB0_299 Depth=3
	v_bfe_u32 v20, v19, 20, 1
	v_add_co_u32_e64 v20, s[18:19], v19, v20
	v_add_co_u32_e64 v20, s[18:19], -1, v20
; %bb.704:                              ;   in Loop: Header=BB0_299 Depth=3
	s_or_b64 exec, exec, s[78:79]
	v_add_u32_e32 v21, 0xffffff81, v28
	v_cndmask_b32_e32 v21, v21, v54, vcc
	v_lshrrev_b32_e32 v24, 23, v19
	v_add3_u32 v24, v23, v21, v24
	v_add_u32_e32 v23, 6, v24
	v_and_b32_e32 v20, 0xfffff, v20
	v_add_u32_e32 v40, v20, v19
	v_cmp_ne_u32_e32 vcc, 0, v23
                                        ; implicit-def: $vgpr19_vgpr20
                                        ; implicit-def: $vgpr21
	s_and_saveexec_b64 s[18:19], vcc
	s_xor_b64 s[18:19], exec, s[18:19]
; %bb.705:                              ;   in Loop: Header=BB0_299 Depth=3
	v_cmp_lt_u64_e32 vcc, s[58:59], v[40:41]
	v_add_u32_e32 v19, 7, v24
	v_cndmask_b32_e32 v21, v23, v19, vcc
	v_cndmask_b32_e64 v19, 0, 1, vcc
	v_lshrrev_b64 v[19:20], v19, v[40:41]
; %bb.706:                              ;   in Loop: Header=BB0_299 Depth=3
	s_andn2_saveexec_b64 s[18:19], s[18:19]
; %bb.707:                              ;   in Loop: Header=BB0_299 Depth=3
	v_mov_b32_e32 v19, v40
	v_bfe_u32 v21, v40, 23, 1
	v_mov_b32_e32 v20, v41
; %bb.708:                              ;   in Loop: Header=BB0_299 Depth=3
	s_or_b64 exec, exec, s[18:19]
	v_lshrrev_b64 v[19:20], 20, v[19:20]
	v_cmp_gt_i32_e32 vcc, 16, v21
	v_cndmask_b32_e32 v20, 0, v20, vcc
	v_cndmask_b32_e32 v19, 7, v19, vcc
	v_cmp_eq_u64_e64 s[18:19], 0, v[19:20]
	v_min_i32_e32 v20, 15, v21
	v_lshlrev_b32_e32 v20, 3, v20
	v_cmp_eq_u32_e32 vcc, 0, v21
	v_and_b32_e32 v20, 0xf8, v20
	v_and_or_b32 v19, v19, 7, v20
	s_and_b64 s[18:19], vcc, s[18:19]
	v_cndmask_b32_e64 v19, v19, 0, s[18:19]
	v_or_b32_e32 v19, v19, v0
.LBB0_709:                              ;   in Loop: Header=BB0_299 Depth=3
	s_or_b64 exec, exec, s[76:77]
                                        ; implicit-def: $vgpr0
.LBB0_710:                              ;   in Loop: Header=BB0_299 Depth=3
	s_andn2_saveexec_b64 s[18:19], s[74:75]
; %bb.711:                              ;   in Loop: Header=BB0_299 Depth=3
	v_or_b32_e32 v19, 0x7e, v0
; %bb.712:                              ;   in Loop: Header=BB0_299 Depth=3
	s_or_b64 exec, exec, s[18:19]
                                        ; implicit-def: $vgpr20
.LBB0_713:                              ;   in Loop: Header=BB0_299 Depth=3
	s_andn2_saveexec_b64 s[18:19], s[72:73]
	s_cbranch_execz .LBB0_298
; %bb.714:                              ;   in Loop: Header=BB0_299 Depth=3
	v_or_b32_sdwa v19, v20, s37 dst_sel:DWORD dst_unused:UNUSED_PAD src0_sel:BYTE_3 src1_sel:DWORD
	s_branch .LBB0_298
.LBB0_715:                              ;   in Loop: Header=BB0_255 Depth=2
	s_or_b64 exec, exec, s[62:63]
	v_mov_b32_e32 v61, v37
	v_mov_b32_e32 v60, v36
	s_or_b64 exec, exec, s[60:61]
	s_and_saveexec_b64 s[18:19], s[10:11]
	s_cbranch_execz .LBB0_292
.LBB0_716:                              ;   in Loop: Header=BB0_255 Depth=2
	s_and_saveexec_b64 s[60:61], s[40:41]
	s_xor_b64 s[60:61], exec, s[60:61]
	s_cbranch_execz .LBB0_731
; %bb.717:                              ;   in Loop: Header=BB0_255 Depth=2
	s_and_saveexec_b64 s[62:63], s[12:13]
	s_cbranch_execz .LBB0_730
; %bb.718:                              ;   in Loop: Header=BB0_255 Depth=2
	s_mov_b64 s[74:75], exec
	s_waitcnt vmcnt(0) lgkmcnt(0)
	v_mbcnt_lo_u32_b32 v0, s74, 0
	v_mbcnt_hi_u32_b32 v0, s75, v0
	v_cmp_eq_u32_e32 vcc, 0, v0
	buffer_wbinvl1_vol
	s_and_saveexec_b64 s[72:73], vcc
	s_cbranch_execz .LBB0_720
; %bb.719:                              ;   in Loop: Header=BB0_255 Depth=2
	s_bcnt1_i32_b64 s26, s[74:75]
	v_mov_b32_e32 v40, s26
	ds_add_u64 v0, v[40:41]
	s_trap 2
.LBB0_720:                              ;   in Loop: Header=BB0_255 Depth=2
	s_or_b64 exec, exec, s[72:73]
	s_trap 2
	ds_read_b64 v[9:10], v0
	s_waitcnt lgkmcnt(0)
	buffer_load_dword v0, off, s[0:3], s32 offset:116 ; 4-byte Folded Reload
	s_waitcnt vmcnt(0)
	v_add_co_u32_e32 v2, vcc, v2, v0
	v_addc_co_u32_e32 v3, vcc, 0, v3, vcc
	v_cmp_lt_u64_e32 vcc, v[9:10], v[2:3]
	s_and_saveexec_b64 s[72:73], vcc
	s_cbranch_execz .LBB0_729
; %bb.721:                              ;   in Loop: Header=BB0_255 Depth=2
	s_mov_b32 s26, 0
	s_mov_b64 s[74:75], 0
                                        ; implicit-def: $sgpr76_sgpr77
                                        ; implicit-def: $sgpr78_sgpr79
	s_branch .LBB0_723
.LBB0_722:                              ;   in Loop: Header=BB0_723 Depth=3
	s_or_b64 exec, exec, s[90:91]
	s_and_b64 s[88:89], exec, s[92:93]
	s_or_b64 s[74:75], s[88:89], s[74:75]
	s_andn2_b64 s[76:77], s[76:77], exec
	s_and_b64 s[88:89], s[78:79], exec
	s_or_b64 s[76:77], s[76:77], s[88:89]
	s_andn2_b64 exec, exec, s[74:75]
	s_cbranch_execz .LBB0_727
.LBB0_723:                              ;   Parent Loop BB0_30 Depth=1
                                        ;     Parent Loop BB0_255 Depth=2
                                        ; =>    This Inner Loop Header: Depth=3
	s_add_i32 s26, s26, 1
	s_cmpk_lg_i32 s26, 0x2710
	s_cselect_b64 s[88:89], -1, 0
	s_and_b64 vcc, exec, s[88:89]
	s_cbranch_vccz .LBB0_725
; %bb.724:                              ;   in Loop: Header=BB0_723 Depth=3
	s_mov_b64 s[92:93], -1
	s_or_b64 s[78:79], s[78:79], exec
	s_and_saveexec_b64 s[90:91], s[88:89]
	s_cbranch_execz .LBB0_722
	s_branch .LBB0_726
.LBB0_725:                              ;   in Loop: Header=BB0_723 Depth=3
	s_trap 2
	ds_read_b64 v[9:10], v0
	s_andn2_b64 s[88:89], s[88:89], exec
	s_mov_b32 s26, 0
	s_waitcnt lgkmcnt(0)
	flat_load_dword v0, v[9:10] glc
	s_waitcnt vmcnt(0) lgkmcnt(0)
	buffer_wbinvl1_vol
	v_cmp_eq_u32_e32 vcc, 0, v0
	s_and_b64 s[90:91], vcc, exec
	s_or_b64 s[88:89], s[88:89], s[90:91]
	s_mov_b64 s[92:93], -1
	s_or_b64 s[78:79], s[78:79], exec
	s_and_saveexec_b64 s[90:91], s[88:89]
	s_cbranch_execz .LBB0_722
.LBB0_726:                              ;   in Loop: Header=BB0_723 Depth=3
	s_sleep 1
	s_trap 2
	ds_read_b64 v[9:10], v0
	s_waitcnt lgkmcnt(0)
	s_andn2_b64 s[78:79], s[78:79], exec
	v_cmp_ge_u64_e32 vcc, v[9:10], v[2:3]
	s_orn2_b64 s[92:93], vcc, exec
	s_branch .LBB0_722
.LBB0_727:                              ;   in Loop: Header=BB0_255 Depth=2
	s_or_b64 exec, exec, s[74:75]
	s_and_saveexec_b64 s[74:75], s[76:77]
	s_xor_b64 s[74:75], exec, s[74:75]
	s_cbranch_execz .LBB0_729
; %bb.728:                              ;   in Loop: Header=BB0_255 Depth=2
	v_mov_b32_e32 v0, 1
	ds_write_b32 v0, v0
	s_trap 2
.LBB0_729:                              ;   in Loop: Header=BB0_255 Depth=2
	s_or_b64 exec, exec, s[72:73]
	;;#ASMSTART
	s_wakeup
	;;#ASMEND
.LBB0_730:                              ;   in Loop: Header=BB0_255 Depth=2
	s_or_b64 exec, exec, s[62:63]
.LBB0_731:                              ;   in Loop: Header=BB0_255 Depth=2
	s_andn2_saveexec_b64 s[60:61], s[60:61]
	s_cbranch_execz .LBB0_733
; %bb.732:                              ;   in Loop: Header=BB0_255 Depth=2
	s_waitcnt vmcnt(0) lgkmcnt(0)
	buffer_wbinvl1_vol
	s_barrier
.LBB0_733:                              ;   in Loop: Header=BB0_255 Depth=2
	s_or_b64 exec, exec, s[60:61]
	s_or_b64 exec, exec, s[18:19]
	s_and_saveexec_b64 s[18:19], s[14:15]
	s_cbranch_execnz .LBB0_293
	s_branch .LBB0_294
.LBB0_734:                              ;   in Loop: Header=BB0_30 Depth=1
	v_mov_b32_e32 v21, v46
	v_mov_b32_e32 v22, v47
	s_and_saveexec_b64 s[18:19], s[16:17]
	s_cbranch_execnz .LBB0_736
	s_branch .LBB0_1173
.LBB0_735:                              ;   in Loop: Header=BB0_30 Depth=1
	buffer_load_dword v23, off, s[0:3], s32 offset:180 ; 4-byte Folded Reload
	buffer_load_dword v24, off, s[0:3], s32 offset:184 ; 4-byte Folded Reload
	v_mov_b32_e32 v21, v46
	v_mov_b32_e32 v22, v47
	s_and_saveexec_b64 s[18:19], s[16:17]
	s_cbranch_execz .LBB0_1173
.LBB0_736:                              ;   in Loop: Header=BB0_30 Depth=1
	s_waitcnt lgkmcnt(0)
	flat_load_dword v0, v[60:61]
	buffer_load_dword v17, off, s[0:3], s32 offset:188 ; 4-byte Folded Reload
	buffer_load_dword v18, off, s[0:3], s32 offset:192 ; 4-byte Folded Reload
	buffer_load_dword v19, off, s[0:3], s32 offset:196 ; 4-byte Folded Reload
	buffer_load_dword v20, off, s[0:3], s32 offset:200 ; 4-byte Folded Reload
	buffer_load_dword v11, off, s[0:3], s32 offset:84 ; 4-byte Folded Reload
	buffer_load_dword v17, off, s[0:3], s32 offset:80 ; 4-byte Folded Reload
	v_add_u32_e32 v59, 1, v34
	s_mov_b64 s[60:61], 0
	s_waitcnt vmcnt(0) lgkmcnt(0)
	v_ashrrev_i32_e32 v4, 31, v0
	v_mov_b32_e32 v9, v19
	v_mov_b32_e32 v10, v20
	v_add_co_u32_e32 v9, vcc, v9, v23
	v_addc_co_u32_e32 v10, vcc, v10, v24, vcc
	v_mul_lo_u32 v11, v11, v0
	v_mul_lo_u32 v4, v17, v4
	v_mad_u64_u32 v[9:10], s[16:17], v17, v0, v[9:10]
	v_add3_u32 v0, v11, v10, v4
	buffer_load_dword v4, off, s[0:3], s32 offset:136 ; 4-byte Folded Reload
	s_waitcnt vmcnt(0)
	v_add_co_u32_e32 v49, vcc, v9, v4
	v_addc_co_u32_e32 v42, vcc, 0, v0, vcc
	buffer_load_dword v0, off, s[0:3], s32 offset:212 ; 4-byte Folded Reload
	s_waitcnt vmcnt(0)
	v_add_co_u32_e32 v46, vcc, v0, v23
	buffer_load_dword v0, off, s[0:3], s32 offset:216 ; 4-byte Folded Reload
	buffer_load_dword v17, off, s[0:3], s32 offset:96 ; 4-byte Folded Reload
	buffer_load_dword v18, off, s[0:3], s32 offset:100 ; 4-byte Folded Reload
	buffer_load_dword v56, off, s[0:3], s32 offset:60 ; 4-byte Folded Reload
	buffer_load_dword v57, off, s[0:3], s32 offset:64 ; 4-byte Folded Reload
	s_waitcnt vmcnt(4)
	v_addc_co_u32_e32 v47, vcc, v0, v24, vcc
	v_and_b32_e32 v0, 7, v34
	v_mul_lo_u32 v9, v0, s34
	v_ashrrev_i32_e32 v10, 31, v9
	v_lshlrev_b64 v[9:10], 4, v[9:10]
	s_waitcnt vmcnt(3)
	v_add_co_u32_e32 v43, vcc, v17, v9
	s_waitcnt vmcnt(2)
	v_addc_co_u32_e32 v58, vcc, v18, v10, vcc
	s_branch .LBB0_738
.LBB0_737:                              ;   in Loop: Header=BB0_738 Depth=2
	v_add_co_u32_e32 v49, vcc, v49, v25
	v_addc_co_u32_e32 v42, vcc, 0, v42, vcc
	v_add_co_u32_e32 v46, vcc, v46, v25
	v_addc_co_u32_e32 v47, vcc, 0, v47, vcc
	v_sub_u32_e32 v48, v48, v25
	v_cmp_gt_i32_e32 vcc, 1, v48
	s_or_b64 s[60:61], vcc, s[60:61]
	v_add_u32_e32 v56, v56, v1
	s_andn2_b64 exec, exec, s[60:61]
	s_cbranch_execz .LBB0_1172
.LBB0_738:                              ;   Parent Loop BB0_30 Depth=1
                                        ; =>  This Loop Header: Depth=2
                                        ;       Child Loop BB0_746 Depth 3
	v_and_b32_e32 v17, -4, v49
	v_mov_b32_e32 v18, v42
	global_load_dword v0, v[17:18], off glc slc
	v_min_u32_e32 v4, 8, v48
	v_and_b32_e32 v9, 3, v49
	v_add_u32_e32 v40, v9, v4
	v_cmp_lt_u32_e32 vcc, 4, v40
	v_mov_b32_e32 v10, 0
	v_mov_b32_e32 v26, 0
	s_and_saveexec_b64 s[16:17], vcc
	s_cbranch_execz .LBB0_740
; %bb.739:                              ;   in Loop: Header=BB0_738 Depth=2
	global_load_dword v26, v[17:18], off offset:4 glc slc
.LBB0_740:                              ;   in Loop: Header=BB0_738 Depth=2
	s_or_b64 exec, exec, s[16:17]
	v_cmp_lt_u64_e32 vcc, 8, v[40:41]
	s_and_saveexec_b64 s[16:17], vcc
	s_cbranch_execz .LBB0_742
; %bb.741:                              ;   in Loop: Header=BB0_738 Depth=2
	global_load_dword v10, v[17:18], off offset:8 glc slc
.LBB0_742:                              ;   in Loop: Header=BB0_738 Depth=2
	s_or_b64 exec, exec, s[16:17]
	s_waitcnt vmcnt(0)
	v_mov_b32_e32 v57, v41
	v_lshlrev_b64 v[17:18], 4, v[56:57]
	v_add_co_u32_e32 v29, vcc, v43, v17
	v_addc_co_u32_e32 v30, vcc, v58, v18, vcc
	global_load_dwordx4 v[17:20], v[29:30], off glc slc
	v_cmp_eq_u32_e32 vcc, 0, v12
	v_mov_b32_e32 v12, 1
	s_and_saveexec_b64 s[62:63], vcc
	s_cbranch_execz .LBB0_754
; %bb.743:                              ;   in Loop: Header=BB0_738 Depth=2
	s_waitcnt vmcnt(0)
	v_cmp_ne_u32_e32 vcc, v59, v18
	v_cmp_ne_u32_e64 s[16:17], v59, v20
	s_or_b64 s[16:17], vcc, s[16:17]
	v_mov_b32_e32 v12, 0
	s_and_saveexec_b64 s[72:73], s[16:17]
	s_cbranch_execz .LBB0_753
; %bb.744:                              ;   in Loop: Header=BB0_738 Depth=2
	s_mov_b32 s26, 1
	s_mov_b64 s[76:77], 0
                                        ; implicit-def: $sgpr74_sgpr75
                                        ; implicit-def: $sgpr78_sgpr79
	s_branch .LBB0_746
.LBB0_745:                              ;   in Loop: Header=BB0_746 Depth=3
	s_or_b64 exec, exec, s[90:91]
	s_and_b64 s[16:17], exec, s[16:17]
	s_or_b64 s[76:77], s[16:17], s[76:77]
	s_andn2_b64 s[16:17], s[74:75], exec
	s_and_b64 s[74:75], s[78:79], exec
	s_or_b64 s[74:75], s[16:17], s[74:75]
	s_andn2_b64 exec, exec, s[76:77]
	s_cbranch_execz .LBB0_750
.LBB0_746:                              ;   Parent Loop BB0_30 Depth=1
                                        ;     Parent Loop BB0_738 Depth=2
                                        ; =>    This Inner Loop Header: Depth=3
	global_load_dwordx4 v[17:20], v[29:30], off glc slc
	s_add_i32 s26, s26, 1
	s_mov_b64 s[16:17], -1
	s_cmpk_lg_i32 s26, 0x2710
	s_mov_b64 s[88:89], -1
                                        ; implicit-def: $vgpr4
	s_cbranch_scc0 .LBB0_748
; %bb.747:                              ;   in Loop: Header=BB0_746 Depth=3
	s_or_b64 s[78:79], s[78:79], exec
	s_and_saveexec_b64 s[90:91], s[88:89]
	s_cbranch_execz .LBB0_745
	s_branch .LBB0_749
.LBB0_748:                              ;   in Loop: Header=BB0_746 Depth=3
	s_trap 2
	ds_read_b64 v[11:12], v0
	s_mov_b32 s26, 0
	s_waitcnt vmcnt(0) lgkmcnt(0)
	flat_load_dword v4, v[11:12] glc
	s_waitcnt vmcnt(0) lgkmcnt(0)
	buffer_wbinvl1_vol
	v_cmp_eq_u32_e32 vcc, 0, v4
	s_orn2_b64 s[88:89], vcc, exec
	s_or_b64 s[78:79], s[78:79], exec
	s_and_saveexec_b64 s[90:91], s[88:89]
	s_cbranch_execz .LBB0_745
.LBB0_749:                              ;   in Loop: Header=BB0_746 Depth=3
	s_waitcnt vmcnt(0)
	v_cmp_eq_u32_e32 vcc, v59, v18
	v_cmp_eq_u32_e64 s[16:17], v59, v20
	s_and_b64 s[16:17], vcc, s[16:17]
	s_andn2_b64 s[78:79], s[78:79], exec
	s_orn2_b64 s[16:17], s[16:17], exec
	s_branch .LBB0_745
.LBB0_750:                              ;   in Loop: Header=BB0_738 Depth=2
	s_or_b64 exec, exec, s[76:77]
	v_mov_b32_e32 v12, 0
	s_and_saveexec_b64 s[16:17], s[74:75]
	s_xor_b64 s[16:17], exec, s[16:17]
	s_cbranch_execz .LBB0_752
; %bb.751:                              ;   in Loop: Header=BB0_738 Depth=2
	v_mov_b32_e32 v12, 1
	ds_write_b32 v0, v4
	s_trap 2
.LBB0_752:                              ;   in Loop: Header=BB0_738 Depth=2
	s_or_b64 exec, exec, s[16:17]
.LBB0_753:                              ;   in Loop: Header=BB0_738 Depth=2
	s_or_b64 exec, exec, s[72:73]
.LBB0_754:                              ;   in Loop: Header=BB0_738 Depth=2
	s_or_b64 exec, exec, s[62:63]
	v_lshlrev_b32_e32 v4, 3, v49
	s_waitcnt vmcnt(0)
	v_alignbit_b32 v40, v26, v0, v4
	v_cmp_ne_u16_sdwa s[62:63], v40, v41 src0_sel:BYTE_0 src1_sel:DWORD
	v_mov_b32_e32 v0, 0
	s_and_saveexec_b64 s[16:17], s[62:63]
	s_cbranch_execz .LBB0_760
; %bb.755:                              ;   in Loop: Header=BB0_738 Depth=2
	v_cmp_ne_u16_sdwa s[72:73], v40, s36 src0_sel:BYTE_0 src1_sel:DWORD
	v_bfrev_b32_e32 v0, 1
	s_and_saveexec_b64 s[62:63], s[72:73]
	s_cbranch_execz .LBB0_759
; %bb.756:                              ;   in Loop: Header=BB0_738 Depth=2
	v_and_b32_e32 v9, 0x7f, v40
	v_cmp_ne_u32_e32 vcc, s37, v9
	v_mov_b32_e32 v0, 0x7f800001
	s_and_saveexec_b64 s[72:73], vcc
	s_cbranch_execz .LBB0_758
; %bb.757:                              ;   in Loop: Header=BB0_738 Depth=2
	v_and_b32_e32 v0, 7, v40
	v_ffbh_u32_e32 v0, v0
	v_min_u32_e32 v0, 32, v0
	v_lshrrev_b32_e32 v11, 3, v9
	v_cmp_gt_u32_e32 vcc, 8, v9
	v_subrev_u32_e32 v9, 28, v0
	v_cndmask_b32_e32 v9, 0, v9, vcc
	v_lshlrev_b64 v[23:24], v9, v[40:41]
	v_sub_u32_e32 v0, 29, v0
	v_cndmask_b32_e32 v0, v11, v0, vcc
	v_lshlrev_b32_e32 v9, 20, v23
	v_lshlrev_b32_e32 v11, 24, v40
	v_and_b32_e32 v9, 0x700000, v9
	v_and_b32_e32 v11, 0x80000000, v11
	v_lshl_add_u32 v0, v0, 23, v7
	v_or3_b32 v0, v11, v0, v9
.LBB0_758:                              ;   in Loop: Header=BB0_738 Depth=2
	s_or_b64 exec, exec, s[72:73]
.LBB0_759:                              ;   in Loop: Header=BB0_738 Depth=2
	s_or_b64 exec, exec, s[62:63]
.LBB0_760:                              ;   in Loop: Header=BB0_738 Depth=2
	s_or_b64 exec, exec, s[16:17]
	v_mul_f32_e32 v11, v62, v0
	v_and_b32_e32 v23, 0x7f800000, v11
	v_mov_b32_e32 v24, v41
	v_cmp_ne_u64_e32 vcc, s[46:47], v[23:24]
                                        ; implicit-def: $vgpr9
	s_and_saveexec_b64 s[16:17], vcc
	s_xor_b64 s[62:63], exec, s[16:17]
	s_cbranch_execz .LBB0_774
; %bb.761:                              ;   in Loop: Header=BB0_738 Depth=2
	v_and_b32_e32 v23, 0x7fffffff, v11
	v_mov_b32_e32 v24, v41
	v_cmp_gt_u64_e32 vcc, s[56:57], v[23:24]
	v_and_b32_sdwa v0, v11, s36 dst_sel:DWORD dst_unused:UNUSED_PAD src0_sel:BYTE_3 src1_sel:DWORD
                                        ; implicit-def: $vgpr9
	s_and_saveexec_b64 s[16:17], vcc
	s_xor_b64 s[72:73], exec, s[16:17]
	s_cbranch_execz .LBB0_771
; %bb.762:                              ;   in Loop: Header=BB0_738 Depth=2
	v_mov_b32_e32 v9, 0
	v_cmp_ne_u32_e32 vcc, 0, v11
	s_and_saveexec_b64 s[74:75], vcc
	s_cbranch_execz .LBB0_770
; %bb.763:                              ;   in Loop: Header=BB0_738 Depth=2
	v_bfe_u32 v9, v11, 23, 8
	v_and_b32_e32 v23, 0x7fffff, v11
	v_cmp_gt_u32_e64 s[16:17], s38, v9
	v_sub_u32_e32 v11, 0x79, v9
	v_cmp_eq_u32_e32 vcc, 0, v9
	v_cndmask_b32_e64 v11, 0, v11, s[16:17]
	v_cndmask_b32_e32 v11, v11, v8, vcc
	v_add_u32_e32 v27, 20, v11
	v_or_b32_e32 v24, 0x800000, v23
	v_lshlrev_b64 v[27:28], v27, -1
	v_add_u32_e32 v29, 19, v11
	v_cndmask_b32_e32 v23, v24, v23, vcc
	v_lshlrev_b64 v[29:30], v29, 1
	v_mov_b32_e32 v24, v41
	v_bfi_b32 v28, v28, 0, 0
	v_bfi_b32 v27, v27, 0, v23
	v_cmp_eq_u64_e64 s[16:17], v[27:28], v[29:30]
	v_lshrrev_b64 v[27:28], v11, v[23:24]
	v_mov_b32_e32 v29, v28
	v_mov_b32_e32 v28, v27
	s_and_saveexec_b64 s[76:77], s[16:17]
; %bb.764:                              ;   in Loop: Header=BB0_738 Depth=2
	v_bfe_u32 v23, v27, 20, 1
	v_add_co_u32_e64 v23, s[16:17], v27, v23
	v_add_co_u32_e64 v28, s[16:17], -1, v23
; %bb.765:                              ;   in Loop: Header=BB0_738 Depth=2
	s_or_b64 exec, exec, s[76:77]
	v_add_u32_e32 v9, 0xffffff81, v9
	v_cndmask_b32_e32 v9, v9, v54, vcc
	v_lshrrev_b32_e32 v23, 23, v27
	v_add3_u32 v23, v11, v9, v23
	v_add_u32_e32 v11, 6, v23
	v_and_b32_e32 v9, 0xfffff, v28
	v_add_u32_e32 v27, v9, v27
	v_mov_b32_e32 v28, v41
	v_cmp_ne_u32_e32 vcc, 0, v11
                                        ; implicit-def: $vgpr9
	s_and_saveexec_b64 s[16:17], vcc
	s_xor_b64 s[16:17], exec, s[16:17]
; %bb.766:                              ;   in Loop: Header=BB0_738 Depth=2
	v_cmp_lt_u64_e32 vcc, s[58:59], v[27:28]
	v_add_u32_e32 v9, 7, v23
	v_cndmask_b32_e32 v9, v11, v9, vcc
	v_cndmask_b32_e64 v11, 0, 1, vcc
	v_lshrrev_b64 v[27:28], v11, v[27:28]
; %bb.767:                              ;   in Loop: Header=BB0_738 Depth=2
	s_andn2_saveexec_b64 s[16:17], s[16:17]
; %bb.768:                              ;   in Loop: Header=BB0_738 Depth=2
	v_bfe_u32 v9, v27, 23, 1
; %bb.769:                              ;   in Loop: Header=BB0_738 Depth=2
	s_or_b64 exec, exec, s[16:17]
	v_lshrrev_b64 v[23:24], 20, v[27:28]
	v_cmp_gt_i32_e32 vcc, 16, v9
	v_cndmask_b32_e32 v24, 0, v24, vcc
	v_cndmask_b32_e32 v23, 7, v23, vcc
	v_cmp_eq_u32_e32 vcc, 0, v9
	v_min_i32_e32 v9, 15, v9
	v_cmp_eq_u64_e64 s[16:17], 0, v[23:24]
	v_lshlrev_b32_e32 v9, 3, v9
	v_and_b32_e32 v9, 0xf8, v9
	v_and_or_b32 v9, v23, 7, v9
	s_and_b64 s[16:17], vcc, s[16:17]
	v_cndmask_b32_e64 v9, v9, 0, s[16:17]
	v_or_b32_e32 v9, v9, v0
.LBB0_770:                              ;   in Loop: Header=BB0_738 Depth=2
	s_or_b64 exec, exec, s[74:75]
                                        ; implicit-def: $vgpr0
.LBB0_771:                              ;   in Loop: Header=BB0_738 Depth=2
	s_andn2_saveexec_b64 s[16:17], s[72:73]
; %bb.772:                              ;   in Loop: Header=BB0_738 Depth=2
	v_or_b32_e32 v9, 0x7e, v0
; %bb.773:                              ;   in Loop: Header=BB0_738 Depth=2
	s_or_b64 exec, exec, s[16:17]
                                        ; implicit-def: $vgpr11
.LBB0_774:                              ;   in Loop: Header=BB0_738 Depth=2
	s_andn2_saveexec_b64 s[16:17], s[62:63]
; %bb.775:                              ;   in Loop: Header=BB0_738 Depth=2
	v_or_b32_sdwa v9, v11, s37 dst_sel:DWORD dst_unused:UNUSED_PAD src0_sel:BYTE_3 src1_sel:DWORD
; %bb.776:                              ;   in Loop: Header=BB0_738 Depth=2
	s_or_b64 exec, exec, s[16:17]
	v_lshrrev_b16_e32 v0, 8, v40
	v_cmp_ne_u16_e32 vcc, 0, v0
	v_mov_b32_e32 v11, 0
	s_and_saveexec_b64 s[16:17], vcc
	s_cbranch_execz .LBB0_782
; %bb.777:                              ;   in Loop: Header=BB0_738 Depth=2
	v_cmp_ne_u16_e32 vcc, s36, v0
	v_bfrev_b32_e32 v11, 1
	s_and_saveexec_b64 s[62:63], vcc
	s_cbranch_execz .LBB0_781
; %bb.778:                              ;   in Loop: Header=BB0_738 Depth=2
	v_and_b32_e32 v23, 0x7f, v0
	v_cmp_ne_u32_e32 vcc, s37, v23
	v_mov_b32_e32 v11, 0x7f800001
	s_and_saveexec_b64 s[72:73], vcc
	s_cbranch_execz .LBB0_780
; %bb.779:                              ;   in Loop: Header=BB0_738 Depth=2
	v_and_b32_e32 v11, 7, v0
	v_lshrrev_b32_e32 v27, 3, v23
	v_cmp_gt_u32_e32 vcc, 8, v23
	v_ffbh_u32_e32 v23, v11
	v_min_u32_e32 v28, 32, v23
	v_subrev_u32_e32 v23, 28, v28
	v_lshlrev_b64 v[23:24], v23, v[0:1]
	v_sub_u32_e32 v0, 29, v28
	v_and_b32_e32 v23, 7, v23
	v_cndmask_b32_e32 v0, v27, v0, vcc
	v_cndmask_b32_e32 v11, v11, v23, vcc
	v_lshlrev_b32_e32 v23, 16, v40
	v_lshlrev_b32_e32 v11, 20, v11
	v_and_b32_e32 v23, 0x80000000, v23
	v_lshl_add_u32 v0, v0, 23, v7
	v_or3_b32 v11, v23, v0, v11
.LBB0_780:                              ;   in Loop: Header=BB0_738 Depth=2
	s_or_b64 exec, exec, s[72:73]
.LBB0_781:                              ;   in Loop: Header=BB0_738 Depth=2
	s_or_b64 exec, exec, s[62:63]
.LBB0_782:                              ;   in Loop: Header=BB0_738 Depth=2
	s_or_b64 exec, exec, s[16:17]
	v_mul_f32_e32 v27, v62, v11
	v_and_b32_e32 v23, 0x7f800000, v27
	v_mov_b32_e32 v24, v41
	v_cmp_ne_u64_e32 vcc, s[46:47], v[23:24]
                                        ; implicit-def: $vgpr11
	s_and_saveexec_b64 s[16:17], vcc
	s_xor_b64 s[62:63], exec, s[16:17]
	s_cbranch_execz .LBB0_796
; %bb.783:                              ;   in Loop: Header=BB0_738 Depth=2
	v_and_b32_e32 v23, 0x7fffffff, v27
	v_mov_b32_e32 v24, v41
	v_cmp_gt_u64_e32 vcc, s[56:57], v[23:24]
	v_and_b32_sdwa v0, v27, s36 dst_sel:DWORD dst_unused:UNUSED_PAD src0_sel:BYTE_3 src1_sel:DWORD
                                        ; implicit-def: $vgpr11
	s_and_saveexec_b64 s[16:17], vcc
	s_xor_b64 s[72:73], exec, s[16:17]
	s_cbranch_execz .LBB0_793
; %bb.784:                              ;   in Loop: Header=BB0_738 Depth=2
	v_mov_b32_e32 v11, 0
	v_cmp_ne_u32_e32 vcc, 0, v27
	s_and_saveexec_b64 s[74:75], vcc
	s_cbranch_execz .LBB0_792
; %bb.785:                              ;   in Loop: Header=BB0_738 Depth=2
	v_bfe_u32 v11, v27, 23, 8
	v_cmp_gt_u32_e64 s[16:17], s38, v11
	v_sub_u32_e32 v24, 0x79, v11
	v_and_b32_e32 v23, 0x7fffff, v27
	v_cmp_eq_u32_e32 vcc, 0, v11
	v_cndmask_b32_e64 v24, 0, v24, s[16:17]
	v_or_b32_e32 v27, 0x800000, v23
	v_cndmask_b32_e32 v30, v24, v8, vcc
	v_cndmask_b32_e32 v23, v27, v23, vcc
	v_add_u32_e32 v27, 20, v30
	v_lshlrev_b64 v[27:28], v27, -1
	v_add_u32_e32 v29, 19, v30
	v_lshlrev_b64 v[31:32], v29, 1
	v_mov_b32_e32 v24, v41
	v_bfi_b32 v28, v28, 0, 0
	v_bfi_b32 v27, v27, 0, v23
	v_cmp_eq_u64_e64 s[16:17], v[27:28], v[31:32]
	v_lshrrev_b64 v[27:28], v30, v[23:24]
	v_mov_b32_e32 v29, v28
	v_mov_b32_e32 v28, v27
	s_and_saveexec_b64 s[76:77], s[16:17]
; %bb.786:                              ;   in Loop: Header=BB0_738 Depth=2
	v_bfe_u32 v23, v27, 20, 1
	v_add_co_u32_e64 v23, s[16:17], v27, v23
	v_add_co_u32_e64 v28, s[16:17], -1, v23
; %bb.787:                              ;   in Loop: Header=BB0_738 Depth=2
	s_or_b64 exec, exec, s[76:77]
	v_add_u32_e32 v11, 0xffffff81, v11
	v_cndmask_b32_e32 v11, v11, v54, vcc
	v_lshrrev_b32_e32 v23, 23, v27
	v_add3_u32 v24, v30, v11, v23
	v_add_u32_e32 v23, 6, v24
	v_and_b32_e32 v11, 0xfffff, v28
	v_add_u32_e32 v27, v11, v27
	v_mov_b32_e32 v28, v41
	v_cmp_ne_u32_e32 vcc, 0, v23
                                        ; implicit-def: $vgpr11
	s_and_saveexec_b64 s[16:17], vcc
	s_xor_b64 s[16:17], exec, s[16:17]
; %bb.788:                              ;   in Loop: Header=BB0_738 Depth=2
	v_cmp_lt_u64_e32 vcc, s[58:59], v[27:28]
	v_add_u32_e32 v11, 7, v24
	v_cndmask_b32_e32 v11, v23, v11, vcc
	v_cndmask_b32_e64 v23, 0, 1, vcc
	v_lshrrev_b64 v[27:28], v23, v[27:28]
; %bb.789:                              ;   in Loop: Header=BB0_738 Depth=2
	s_andn2_saveexec_b64 s[16:17], s[16:17]
; %bb.790:                              ;   in Loop: Header=BB0_738 Depth=2
	v_bfe_u32 v11, v27, 23, 1
; %bb.791:                              ;   in Loop: Header=BB0_738 Depth=2
	s_or_b64 exec, exec, s[16:17]
	v_lshrrev_b64 v[23:24], 20, v[27:28]
	v_cmp_gt_i32_e32 vcc, 16, v11
	v_cndmask_b32_e32 v24, 0, v24, vcc
	v_cndmask_b32_e32 v23, 7, v23, vcc
	v_cmp_eq_u32_e32 vcc, 0, v11
	v_min_i32_e32 v11, 15, v11
	v_cmp_eq_u64_e64 s[16:17], 0, v[23:24]
	v_lshlrev_b32_e32 v11, 3, v11
	v_and_b32_e32 v11, 0xf8, v11
	v_and_or_b32 v11, v23, 7, v11
	s_and_b64 s[16:17], vcc, s[16:17]
	v_cndmask_b32_e64 v11, v11, 0, s[16:17]
	v_or_b32_e32 v11, v11, v0
.LBB0_792:                              ;   in Loop: Header=BB0_738 Depth=2
	s_or_b64 exec, exec, s[74:75]
                                        ; implicit-def: $vgpr0
.LBB0_793:                              ;   in Loop: Header=BB0_738 Depth=2
	s_andn2_saveexec_b64 s[16:17], s[72:73]
; %bb.794:                              ;   in Loop: Header=BB0_738 Depth=2
	v_or_b32_e32 v11, 0x7e, v0
; %bb.795:                              ;   in Loop: Header=BB0_738 Depth=2
	s_or_b64 exec, exec, s[16:17]
                                        ; implicit-def: $vgpr27
.LBB0_796:                              ;   in Loop: Header=BB0_738 Depth=2
	s_andn2_saveexec_b64 s[16:17], s[62:63]
; %bb.797:                              ;   in Loop: Header=BB0_738 Depth=2
	v_or_b32_sdwa v11, v27, s37 dst_sel:DWORD dst_unused:UNUSED_PAD src0_sel:BYTE_3 src1_sel:DWORD
; %bb.798:                              ;   in Loop: Header=BB0_738 Depth=2
	s_or_b64 exec, exec, s[16:17]
	v_and_b32_sdwa v24, v40, s35 dst_sel:DWORD dst_unused:UNUSED_PAD src0_sel:WORD_1 src1_sel:DWORD
	v_lshrrev_b32_e32 v0, 16, v40
	v_cmp_ne_u16_e32 vcc, 0, v24
	v_mov_b32_e32 v23, 0
	s_and_saveexec_b64 s[16:17], vcc
	s_cbranch_execz .LBB0_804
; %bb.799:                              ;   in Loop: Header=BB0_738 Depth=2
	v_cmp_ne_u16_e32 vcc, s36, v24
	v_bfrev_b32_e32 v23, 1
	s_and_saveexec_b64 s[62:63], vcc
	s_cbranch_execz .LBB0_803
; %bb.800:                              ;   in Loop: Header=BB0_738 Depth=2
	v_bfe_u32 v24, v40, 16, 7
	v_cmp_ne_u32_e32 vcc, s37, v24
	v_mov_b32_e32 v23, 0x7f800001
	s_and_saveexec_b64 s[72:73], vcc
	s_cbranch_execz .LBB0_802
; %bb.801:                              ;   in Loop: Header=BB0_738 Depth=2
	v_and_b32_e32 v27, 7, v0
	v_ffbh_u32_e32 v23, v27
	v_min_u32_e32 v29, 32, v23
	v_subrev_u32_e32 v23, 28, v29
	v_lshrrev_b32_e32 v28, 3, v24
	v_cmp_gt_u32_e32 vcc, 8, v24
	v_lshlrev_b64 v[23:24], v23, v[0:1]
	v_sub_u32_e32 v0, 29, v29
	v_and_b32_e32 v23, 7, v23
	v_cndmask_b32_e32 v0, v28, v0, vcc
	v_cndmask_b32_e32 v23, v27, v23, vcc
	v_lshlrev_b32_sdwa v24, v55, v40 dst_sel:DWORD dst_unused:UNUSED_PAD src0_sel:DWORD src1_sel:WORD_1
	v_lshlrev_b32_e32 v23, 20, v23
	v_and_b32_e32 v24, 0x80000000, v24
	v_lshl_add_u32 v0, v0, 23, v7
	v_or3_b32 v23, v24, v0, v23
.LBB0_802:                              ;   in Loop: Header=BB0_738 Depth=2
	s_or_b64 exec, exec, s[72:73]
.LBB0_803:                              ;   in Loop: Header=BB0_738 Depth=2
	s_or_b64 exec, exec, s[62:63]
.LBB0_804:                              ;   in Loop: Header=BB0_738 Depth=2
	s_or_b64 exec, exec, s[16:17]
	v_mul_f32_e32 v27, v62, v23
	v_and_b32_e32 v23, 0x7f800000, v27
	v_mov_b32_e32 v24, v41
	v_cmp_ne_u64_e32 vcc, s[46:47], v[23:24]
                                        ; implicit-def: $vgpr31
	s_and_saveexec_b64 s[16:17], vcc
	s_xor_b64 s[62:63], exec, s[16:17]
	s_cbranch_execz .LBB0_818
; %bb.805:                              ;   in Loop: Header=BB0_738 Depth=2
	v_and_b32_e32 v23, 0x7fffffff, v27
	v_mov_b32_e32 v24, v41
	v_cmp_gt_u64_e32 vcc, s[56:57], v[23:24]
	v_and_b32_sdwa v0, v27, s36 dst_sel:DWORD dst_unused:UNUSED_PAD src0_sel:BYTE_3 src1_sel:DWORD
                                        ; implicit-def: $vgpr31
	s_and_saveexec_b64 s[16:17], vcc
	s_xor_b64 s[72:73], exec, s[16:17]
	s_cbranch_execz .LBB0_815
; %bb.806:                              ;   in Loop: Header=BB0_738 Depth=2
	v_mov_b32_e32 v31, 0
	v_cmp_ne_u32_e32 vcc, 0, v27
	s_and_saveexec_b64 s[74:75], vcc
	s_cbranch_execz .LBB0_814
; %bb.807:                              ;   in Loop: Header=BB0_738 Depth=2
	v_bfe_u32 v30, v27, 23, 8
	v_cmp_gt_u32_e64 s[16:17], s38, v30
	v_sub_u32_e32 v24, 0x79, v30
	v_and_b32_e32 v23, 0x7fffff, v27
	v_cmp_eq_u32_e32 vcc, 0, v30
	v_cndmask_b32_e64 v24, 0, v24, s[16:17]
	v_or_b32_e32 v27, 0x800000, v23
	v_cndmask_b32_e32 v31, v24, v8, vcc
	v_cndmask_b32_e32 v23, v27, v23, vcc
	v_add_u32_e32 v27, 20, v31
	v_lshlrev_b64 v[27:28], v27, -1
	v_add_u32_e32 v29, 19, v31
	v_lshlrev_b64 v[32:33], v29, 1
	v_mov_b32_e32 v24, v41
	v_bfi_b32 v28, v28, 0, 0
	v_bfi_b32 v27, v27, 0, v23
	v_cmp_eq_u64_e64 s[16:17], v[27:28], v[32:33]
	v_lshrrev_b64 v[27:28], v31, v[23:24]
	v_mov_b32_e32 v29, v28
	v_mov_b32_e32 v28, v27
	s_and_saveexec_b64 s[76:77], s[16:17]
; %bb.808:                              ;   in Loop: Header=BB0_738 Depth=2
	v_bfe_u32 v23, v27, 20, 1
	v_add_co_u32_e64 v23, s[16:17], v27, v23
	v_add_co_u32_e64 v28, s[16:17], -1, v23
; %bb.809:                              ;   in Loop: Header=BB0_738 Depth=2
	s_or_b64 exec, exec, s[76:77]
	v_add_u32_e32 v23, 0xffffff81, v30
	v_cndmask_b32_e32 v23, v23, v54, vcc
	v_lshrrev_b32_e32 v24, 23, v27
	v_add3_u32 v24, v31, v23, v24
	v_add_u32_e32 v23, 6, v24
	v_and_b32_e32 v28, 0xfffff, v28
	v_add_u32_e32 v27, v28, v27
	v_mov_b32_e32 v28, v41
	v_cmp_ne_u32_e32 vcc, 0, v23
                                        ; implicit-def: $vgpr29
	s_and_saveexec_b64 s[16:17], vcc
	s_xor_b64 s[16:17], exec, s[16:17]
; %bb.810:                              ;   in Loop: Header=BB0_738 Depth=2
	v_cmp_lt_u64_e32 vcc, s[58:59], v[27:28]
	v_add_u32_e32 v24, 7, v24
	v_cndmask_b32_e32 v29, v23, v24, vcc
	v_cndmask_b32_e64 v23, 0, 1, vcc
	v_lshrrev_b64 v[27:28], v23, v[27:28]
; %bb.811:                              ;   in Loop: Header=BB0_738 Depth=2
	s_andn2_saveexec_b64 s[16:17], s[16:17]
; %bb.812:                              ;   in Loop: Header=BB0_738 Depth=2
	v_bfe_u32 v29, v27, 23, 1
; %bb.813:                              ;   in Loop: Header=BB0_738 Depth=2
	s_or_b64 exec, exec, s[16:17]
	v_lshrrev_b64 v[23:24], 20, v[27:28]
	v_cmp_gt_i32_e32 vcc, 16, v29
	v_cndmask_b32_e32 v24, 0, v24, vcc
	v_cndmask_b32_e32 v23, 7, v23, vcc
	v_cmp_eq_u64_e64 s[16:17], 0, v[23:24]
	v_min_i32_e32 v24, 15, v29
	v_lshlrev_b32_e32 v24, 3, v24
	v_cmp_eq_u32_e32 vcc, 0, v29
	v_and_b32_e32 v24, 0xf8, v24
	v_and_or_b32 v23, v23, 7, v24
	s_and_b64 s[16:17], vcc, s[16:17]
	v_cndmask_b32_e64 v23, v23, 0, s[16:17]
	v_or_b32_e32 v31, v23, v0
.LBB0_814:                              ;   in Loop: Header=BB0_738 Depth=2
	s_or_b64 exec, exec, s[74:75]
                                        ; implicit-def: $vgpr0
.LBB0_815:                              ;   in Loop: Header=BB0_738 Depth=2
	s_andn2_saveexec_b64 s[16:17], s[72:73]
; %bb.816:                              ;   in Loop: Header=BB0_738 Depth=2
	v_or_b32_e32 v31, 0x7e, v0
; %bb.817:                              ;   in Loop: Header=BB0_738 Depth=2
	s_or_b64 exec, exec, s[16:17]
                                        ; implicit-def: $vgpr27
.LBB0_818:                              ;   in Loop: Header=BB0_738 Depth=2
	s_andn2_saveexec_b64 s[16:17], s[62:63]
; %bb.819:                              ;   in Loop: Header=BB0_738 Depth=2
	v_or_b32_sdwa v31, v27, s37 dst_sel:DWORD dst_unused:UNUSED_PAD src0_sel:BYTE_3 src1_sel:DWORD
; %bb.820:                              ;   in Loop: Header=BB0_738 Depth=2
	s_or_b64 exec, exec, s[16:17]
	v_cmp_lt_u32_e32 vcc, s39, v40
	v_mov_b32_e32 v23, 0
	s_and_saveexec_b64 s[16:17], vcc
	s_cbranch_execz .LBB0_826
; %bb.821:                              ;   in Loop: Header=BB0_738 Depth=2
	v_lshrrev_b32_e32 v0, 24, v40
	v_cmp_ne_u32_sdwa s[72:73], v40, s36 src0_sel:BYTE_3 src1_sel:DWORD
	v_bfrev_b32_e32 v23, 1
	s_and_saveexec_b64 s[62:63], s[72:73]
	s_cbranch_execz .LBB0_825
; %bb.822:                              ;   in Loop: Header=BB0_738 Depth=2
	v_bfe_u32 v24, v40, 24, 7
	v_cmp_ne_u32_e32 vcc, s37, v24
	v_mov_b32_e32 v23, 0x7f800001
	s_and_saveexec_b64 s[72:73], vcc
	s_cbranch_execz .LBB0_824
; %bb.823:                              ;   in Loop: Header=BB0_738 Depth=2
	v_and_b32_e32 v27, 7, v0
	v_ffbh_u32_e32 v23, v27
	v_min_u32_e32 v29, 32, v23
	v_subrev_u32_e32 v23, 28, v29
	v_lshrrev_b32_e32 v28, 3, v24
	v_cmp_gt_u32_e32 vcc, 8, v24
	v_lshlrev_b64 v[23:24], v23, v[0:1]
	v_sub_u32_e32 v0, 29, v29
	v_and_b32_e32 v23, 7, v23
	v_cndmask_b32_e32 v0, v28, v0, vcc
	v_cndmask_b32_e32 v23, v27, v23, vcc
	v_lshlrev_b32_sdwa v24, v55, v40 dst_sel:DWORD dst_unused:UNUSED_PAD src0_sel:DWORD src1_sel:BYTE_3
	v_lshlrev_b32_e32 v23, 20, v23
	v_and_b32_e32 v24, 0x80000000, v24
	v_lshl_add_u32 v0, v0, 23, v7
	v_or3_b32 v23, v24, v0, v23
.LBB0_824:                              ;   in Loop: Header=BB0_738 Depth=2
	s_or_b64 exec, exec, s[72:73]
.LBB0_825:                              ;   in Loop: Header=BB0_738 Depth=2
	s_or_b64 exec, exec, s[62:63]
.LBB0_826:                              ;   in Loop: Header=BB0_738 Depth=2
	s_or_b64 exec, exec, s[16:17]
	v_mul_f32_e32 v27, v62, v23
	v_and_b32_e32 v40, 0x7f800000, v27
	v_cmp_ne_u64_e32 vcc, s[46:47], v[40:41]
                                        ; implicit-def: $vgpr33
	s_and_saveexec_b64 s[16:17], vcc
	s_xor_b64 s[62:63], exec, s[16:17]
	s_cbranch_execz .LBB0_840
; %bb.827:                              ;   in Loop: Header=BB0_738 Depth=2
	v_and_b32_e32 v40, 0x7fffffff, v27
	v_cmp_gt_u64_e32 vcc, s[56:57], v[40:41]
	v_and_b32_sdwa v0, v27, s36 dst_sel:DWORD dst_unused:UNUSED_PAD src0_sel:BYTE_3 src1_sel:DWORD
                                        ; implicit-def: $vgpr33
	s_and_saveexec_b64 s[16:17], vcc
	s_xor_b64 s[72:73], exec, s[16:17]
	s_cbranch_execz .LBB0_837
; %bb.828:                              ;   in Loop: Header=BB0_738 Depth=2
	v_mov_b32_e32 v33, 0
	v_cmp_ne_u32_e32 vcc, 0, v27
	s_and_saveexec_b64 s[74:75], vcc
	s_cbranch_execz .LBB0_836
; %bb.829:                              ;   in Loop: Header=BB0_738 Depth=2
	v_bfe_u32 v30, v27, 23, 8
	v_cmp_gt_u32_e64 s[16:17], s38, v30
	v_sub_u32_e32 v24, 0x79, v30
	v_and_b32_e32 v23, 0x7fffff, v27
	v_cmp_eq_u32_e32 vcc, 0, v30
	v_cndmask_b32_e64 v24, 0, v24, s[16:17]
	v_or_b32_e32 v27, 0x800000, v23
	v_cndmask_b32_e32 v32, v24, v8, vcc
	v_cndmask_b32_e32 v40, v27, v23, vcc
	v_add_u32_e32 v23, 20, v32
	v_lshlrev_b64 v[23:24], v23, -1
	v_add_u32_e32 v27, 19, v32
	v_lshlrev_b64 v[27:28], v27, 1
	v_bfi_b32 v24, v24, 0, 0
	v_bfi_b32 v23, v23, 0, v40
	v_cmp_eq_u64_e64 s[16:17], v[23:24], v[27:28]
	v_lshrrev_b64 v[27:28], v32, v[40:41]
	v_mov_b32_e32 v29, v28
	v_mov_b32_e32 v28, v27
	s_and_saveexec_b64 s[76:77], s[16:17]
; %bb.830:                              ;   in Loop: Header=BB0_738 Depth=2
	v_bfe_u32 v23, v27, 20, 1
	v_add_co_u32_e64 v23, s[16:17], v27, v23
	v_add_co_u32_e64 v28, s[16:17], -1, v23
; %bb.831:                              ;   in Loop: Header=BB0_738 Depth=2
	s_or_b64 exec, exec, s[76:77]
	v_add_u32_e32 v23, 0xffffff81, v30
	v_cndmask_b32_e32 v23, v23, v54, vcc
	v_lshrrev_b32_e32 v24, 23, v27
	v_add3_u32 v24, v32, v23, v24
	v_add_u32_e32 v23, 6, v24
	v_and_b32_e32 v28, 0xfffff, v28
	v_add_u32_e32 v40, v28, v27
	v_cmp_ne_u32_e32 vcc, 0, v23
                                        ; implicit-def: $vgpr27_vgpr28
                                        ; implicit-def: $vgpr29
	s_and_saveexec_b64 s[16:17], vcc
	s_xor_b64 s[16:17], exec, s[16:17]
; %bb.832:                              ;   in Loop: Header=BB0_738 Depth=2
	v_cmp_lt_u64_e32 vcc, s[58:59], v[40:41]
	v_add_u32_e32 v24, 7, v24
	v_cndmask_b32_e32 v29, v23, v24, vcc
	v_cndmask_b32_e64 v23, 0, 1, vcc
	v_lshrrev_b64 v[27:28], v23, v[40:41]
; %bb.833:                              ;   in Loop: Header=BB0_738 Depth=2
	s_andn2_saveexec_b64 s[16:17], s[16:17]
; %bb.834:                              ;   in Loop: Header=BB0_738 Depth=2
	v_mov_b32_e32 v27, v40
	v_bfe_u32 v29, v40, 23, 1
	v_mov_b32_e32 v28, v41
; %bb.835:                              ;   in Loop: Header=BB0_738 Depth=2
	s_or_b64 exec, exec, s[16:17]
	v_lshrrev_b64 v[23:24], 20, v[27:28]
	v_cmp_gt_i32_e32 vcc, 16, v29
	v_cndmask_b32_e32 v24, 0, v24, vcc
	v_cndmask_b32_e32 v23, 7, v23, vcc
	v_cmp_eq_u64_e64 s[16:17], 0, v[23:24]
	v_min_i32_e32 v24, 15, v29
	v_lshlrev_b32_e32 v24, 3, v24
	v_cmp_eq_u32_e32 vcc, 0, v29
	v_and_b32_e32 v24, 0xf8, v24
	v_and_or_b32 v23, v23, 7, v24
	s_and_b64 s[16:17], vcc, s[16:17]
	v_cndmask_b32_e64 v23, v23, 0, s[16:17]
	v_or_b32_e32 v33, v23, v0
.LBB0_836:                              ;   in Loop: Header=BB0_738 Depth=2
	s_or_b64 exec, exec, s[74:75]
                                        ; implicit-def: $vgpr0
.LBB0_837:                              ;   in Loop: Header=BB0_738 Depth=2
	s_andn2_saveexec_b64 s[16:17], s[72:73]
; %bb.838:                              ;   in Loop: Header=BB0_738 Depth=2
	v_or_b32_e32 v33, 0x7e, v0
; %bb.839:                              ;   in Loop: Header=BB0_738 Depth=2
	s_or_b64 exec, exec, s[16:17]
                                        ; implicit-def: $vgpr27
.LBB0_840:                              ;   in Loop: Header=BB0_738 Depth=2
	s_andn2_saveexec_b64 s[16:17], s[62:63]
; %bb.841:                              ;   in Loop: Header=BB0_738 Depth=2
	v_or_b32_sdwa v33, v27, s37 dst_sel:DWORD dst_unused:UNUSED_PAD src0_sel:BYTE_3 src1_sel:DWORD
; %bb.842:                              ;   in Loop: Header=BB0_738 Depth=2
	s_or_b64 exec, exec, s[16:17]
	v_alignbit_b32 v40, v10, v26, v4
	v_cmp_ne_u16_sdwa s[62:63], v40, v41 src0_sel:BYTE_0 src1_sel:DWORD
	v_mov_b32_e32 v0, 0
	s_and_saveexec_b64 s[16:17], s[62:63]
	s_cbranch_execz .LBB0_848
; %bb.843:                              ;   in Loop: Header=BB0_738 Depth=2
	v_cmp_ne_u16_sdwa s[72:73], v40, s36 src0_sel:BYTE_0 src1_sel:DWORD
	v_bfrev_b32_e32 v0, 1
	s_and_saveexec_b64 s[62:63], s[72:73]
	s_cbranch_execz .LBB0_847
; %bb.844:                              ;   in Loop: Header=BB0_738 Depth=2
	v_and_b32_e32 v4, 0x7f, v40
	v_cmp_ne_u32_e32 vcc, s37, v4
	v_mov_b32_e32 v0, 0x7f800001
	s_and_saveexec_b64 s[72:73], vcc
	s_cbranch_execz .LBB0_846
; %bb.845:                              ;   in Loop: Header=BB0_738 Depth=2
	v_and_b32_e32 v0, 7, v40
	v_ffbh_u32_e32 v0, v0
	v_min_u32_e32 v0, 32, v0
	v_lshrrev_b32_e32 v10, 3, v4
	v_cmp_gt_u32_e32 vcc, 8, v4
	v_subrev_u32_e32 v4, 28, v0
	v_cndmask_b32_e32 v4, 0, v4, vcc
	v_lshlrev_b64 v[23:24], v4, v[40:41]
	v_sub_u32_e32 v0, 29, v0
	v_cndmask_b32_e32 v0, v10, v0, vcc
	v_lshlrev_b32_e32 v4, 20, v23
	v_lshlrev_b32_e32 v10, 24, v40
	v_and_b32_e32 v4, 0x700000, v4
	v_and_b32_e32 v10, 0x80000000, v10
	v_lshl_add_u32 v0, v0, 23, v7
	v_or3_b32 v0, v10, v0, v4
.LBB0_846:                              ;   in Loop: Header=BB0_738 Depth=2
	s_or_b64 exec, exec, s[72:73]
.LBB0_847:                              ;   in Loop: Header=BB0_738 Depth=2
	s_or_b64 exec, exec, s[62:63]
.LBB0_848:                              ;   in Loop: Header=BB0_738 Depth=2
	s_or_b64 exec, exec, s[16:17]
	v_mul_f32_e32 v4, v62, v0
	v_and_b32_e32 v23, 0x7f800000, v4
	v_mov_b32_e32 v24, v41
	v_cmp_ne_u64_e32 vcc, s[46:47], v[23:24]
                                        ; implicit-def: $vgpr10
	s_and_saveexec_b64 s[16:17], vcc
	s_xor_b64 s[62:63], exec, s[16:17]
	s_cbranch_execz .LBB0_862
; %bb.849:                              ;   in Loop: Header=BB0_738 Depth=2
	v_and_b32_e32 v23, 0x7fffffff, v4
	v_mov_b32_e32 v24, v41
	v_cmp_gt_u64_e32 vcc, s[56:57], v[23:24]
	v_and_b32_sdwa v0, v4, s36 dst_sel:DWORD dst_unused:UNUSED_PAD src0_sel:BYTE_3 src1_sel:DWORD
                                        ; implicit-def: $vgpr10
	s_and_saveexec_b64 s[16:17], vcc
	s_xor_b64 s[72:73], exec, s[16:17]
	s_cbranch_execz .LBB0_859
; %bb.850:                              ;   in Loop: Header=BB0_738 Depth=2
	v_mov_b32_e32 v10, 0
	v_cmp_ne_u32_e32 vcc, 0, v4
	s_and_saveexec_b64 s[74:75], vcc
	s_cbranch_execz .LBB0_858
; %bb.851:                              ;   in Loop: Header=BB0_738 Depth=2
	v_and_b32_e32 v23, 0x7fffff, v4
	v_bfe_u32 v4, v4, 23, 8
	v_cmp_gt_u32_e64 s[16:17], s38, v4
	v_sub_u32_e32 v10, 0x79, v4
	v_cmp_eq_u32_e32 vcc, 0, v4
	v_cndmask_b32_e64 v10, 0, v10, s[16:17]
	v_cndmask_b32_e32 v10, v10, v8, vcc
	v_add_u32_e32 v26, 20, v10
	v_or_b32_e32 v24, 0x800000, v23
	v_lshlrev_b64 v[26:27], v26, -1
	v_add_u32_e32 v28, 19, v10
	v_cndmask_b32_e32 v23, v24, v23, vcc
	v_lshlrev_b64 v[28:29], v28, 1
	v_mov_b32_e32 v24, v41
	v_bfi_b32 v27, v27, 0, 0
	v_bfi_b32 v26, v26, 0, v23
	v_cmp_eq_u64_e64 s[16:17], v[26:27], v[28:29]
	v_lshrrev_b64 v[27:28], v10, v[23:24]
	v_mov_b32_e32 v29, v28
	v_mov_b32_e32 v28, v27
	s_and_saveexec_b64 s[76:77], s[16:17]
; %bb.852:                              ;   in Loop: Header=BB0_738 Depth=2
	v_bfe_u32 v23, v27, 20, 1
	v_add_co_u32_e64 v23, s[16:17], v27, v23
	v_add_co_u32_e64 v28, s[16:17], -1, v23
; %bb.853:                              ;   in Loop: Header=BB0_738 Depth=2
	s_or_b64 exec, exec, s[76:77]
	v_add_u32_e32 v4, 0xffffff81, v4
	v_cndmask_b32_e32 v4, v4, v54, vcc
	v_lshrrev_b32_e32 v23, 23, v27
	v_add3_u32 v23, v10, v4, v23
	v_add_u32_e32 v10, 6, v23
	v_and_b32_e32 v4, 0xfffff, v28
	v_add_u32_e32 v27, v4, v27
	v_mov_b32_e32 v28, v41
	v_cmp_ne_u32_e32 vcc, 0, v10
                                        ; implicit-def: $vgpr4
	s_and_saveexec_b64 s[16:17], vcc
	s_xor_b64 s[16:17], exec, s[16:17]
; %bb.854:                              ;   in Loop: Header=BB0_738 Depth=2
	v_cmp_lt_u64_e32 vcc, s[58:59], v[27:28]
	v_add_u32_e32 v4, 7, v23
	v_cndmask_b32_e32 v4, v10, v4, vcc
	v_cndmask_b32_e64 v10, 0, 1, vcc
	v_lshrrev_b64 v[27:28], v10, v[27:28]
; %bb.855:                              ;   in Loop: Header=BB0_738 Depth=2
	s_andn2_saveexec_b64 s[16:17], s[16:17]
; %bb.856:                              ;   in Loop: Header=BB0_738 Depth=2
	v_bfe_u32 v4, v27, 23, 1
; %bb.857:                              ;   in Loop: Header=BB0_738 Depth=2
	s_or_b64 exec, exec, s[16:17]
	v_lshrrev_b64 v[23:24], 20, v[27:28]
	v_cmp_gt_i32_e32 vcc, 16, v4
	v_cndmask_b32_e32 v24, 0, v24, vcc
	v_cndmask_b32_e32 v23, 7, v23, vcc
	v_cmp_eq_u32_e32 vcc, 0, v4
	v_min_i32_e32 v4, 15, v4
	v_cmp_eq_u64_e64 s[16:17], 0, v[23:24]
	v_lshlrev_b32_e32 v4, 3, v4
	v_and_b32_e32 v4, 0xf8, v4
	v_and_or_b32 v4, v23, 7, v4
	s_and_b64 s[16:17], vcc, s[16:17]
	v_cndmask_b32_e64 v4, v4, 0, s[16:17]
	v_or_b32_e32 v10, v4, v0
.LBB0_858:                              ;   in Loop: Header=BB0_738 Depth=2
	s_or_b64 exec, exec, s[74:75]
                                        ; implicit-def: $vgpr0
.LBB0_859:                              ;   in Loop: Header=BB0_738 Depth=2
	s_andn2_saveexec_b64 s[16:17], s[72:73]
; %bb.860:                              ;   in Loop: Header=BB0_738 Depth=2
	v_or_b32_e32 v10, 0x7e, v0
; %bb.861:                              ;   in Loop: Header=BB0_738 Depth=2
	s_or_b64 exec, exec, s[16:17]
                                        ; implicit-def: $vgpr4
.LBB0_862:                              ;   in Loop: Header=BB0_738 Depth=2
	s_andn2_saveexec_b64 s[16:17], s[62:63]
; %bb.863:                              ;   in Loop: Header=BB0_738 Depth=2
	v_or_b32_sdwa v10, v4, s37 dst_sel:DWORD dst_unused:UNUSED_PAD src0_sel:BYTE_3 src1_sel:DWORD
; %bb.864:                              ;   in Loop: Header=BB0_738 Depth=2
	s_or_b64 exec, exec, s[16:17]
	v_lshrrev_b16_e32 v0, 8, v40
	v_cmp_ne_u16_e32 vcc, 0, v0
	v_mov_b32_e32 v4, 0
	s_and_saveexec_b64 s[16:17], vcc
	s_cbranch_execz .LBB0_870
; %bb.865:                              ;   in Loop: Header=BB0_738 Depth=2
	v_cmp_ne_u16_e32 vcc, s36, v0
	v_bfrev_b32_e32 v4, 1
	s_and_saveexec_b64 s[62:63], vcc
	s_cbranch_execz .LBB0_869
; %bb.866:                              ;   in Loop: Header=BB0_738 Depth=2
	v_and_b32_e32 v23, 0x7f, v0
	v_cmp_ne_u32_e32 vcc, s37, v23
	v_mov_b32_e32 v4, 0x7f800001
	s_and_saveexec_b64 s[72:73], vcc
	s_cbranch_execz .LBB0_868
; %bb.867:                              ;   in Loop: Header=BB0_738 Depth=2
	v_and_b32_e32 v4, 7, v0
	v_lshrrev_b32_e32 v26, 3, v23
	v_cmp_gt_u32_e32 vcc, 8, v23
	v_ffbh_u32_e32 v23, v4
	v_min_u32_e32 v27, 32, v23
	v_subrev_u32_e32 v23, 28, v27
	v_lshlrev_b64 v[23:24], v23, v[0:1]
	v_sub_u32_e32 v0, 29, v27
	v_and_b32_e32 v23, 7, v23
	v_cndmask_b32_e32 v0, v26, v0, vcc
	v_cndmask_b32_e32 v4, v4, v23, vcc
	v_lshlrev_b32_e32 v23, 16, v40
	v_lshlrev_b32_e32 v4, 20, v4
	v_and_b32_e32 v23, 0x80000000, v23
	v_lshl_add_u32 v0, v0, 23, v7
	v_or3_b32 v4, v23, v0, v4
.LBB0_868:                              ;   in Loop: Header=BB0_738 Depth=2
	s_or_b64 exec, exec, s[72:73]
.LBB0_869:                              ;   in Loop: Header=BB0_738 Depth=2
	s_or_b64 exec, exec, s[62:63]
.LBB0_870:                              ;   in Loop: Header=BB0_738 Depth=2
	s_or_b64 exec, exec, s[16:17]
	v_mul_f32_e32 v4, v62, v4
	v_and_b32_e32 v23, 0x7f800000, v4
	v_mov_b32_e32 v24, v41
	v_cmp_ne_u64_e32 vcc, s[46:47], v[23:24]
                                        ; implicit-def: $vgpr26
	s_and_saveexec_b64 s[16:17], vcc
	s_xor_b64 s[62:63], exec, s[16:17]
	s_cbranch_execz .LBB0_884
; %bb.871:                              ;   in Loop: Header=BB0_738 Depth=2
	v_and_b32_e32 v23, 0x7fffffff, v4
	v_mov_b32_e32 v24, v41
	v_cmp_gt_u64_e32 vcc, s[56:57], v[23:24]
	v_and_b32_sdwa v0, v4, s36 dst_sel:DWORD dst_unused:UNUSED_PAD src0_sel:BYTE_3 src1_sel:DWORD
                                        ; implicit-def: $vgpr26
	s_and_saveexec_b64 s[16:17], vcc
	s_xor_b64 s[72:73], exec, s[16:17]
	s_cbranch_execz .LBB0_881
; %bb.872:                              ;   in Loop: Header=BB0_738 Depth=2
	v_mov_b32_e32 v26, 0
	v_cmp_ne_u32_e32 vcc, 0, v4
	s_and_saveexec_b64 s[74:75], vcc
	s_cbranch_execz .LBB0_880
; %bb.873:                              ;   in Loop: Header=BB0_738 Depth=2
	v_and_b32_e32 v23, 0x7fffff, v4
	v_bfe_u32 v4, v4, 23, 8
	v_cmp_gt_u32_e64 s[16:17], s38, v4
	v_sub_u32_e32 v24, 0x79, v4
	v_cmp_eq_u32_e32 vcc, 0, v4
	v_cndmask_b32_e64 v24, 0, v24, s[16:17]
	v_or_b32_e32 v27, 0x800000, v23
	v_cndmask_b32_e32 v26, v24, v8, vcc
	v_cndmask_b32_e32 v23, v27, v23, vcc
	v_add_u32_e32 v27, 20, v26
	v_lshlrev_b64 v[27:28], v27, -1
	v_add_u32_e32 v29, 19, v26
	v_lshlrev_b64 v[29:30], v29, 1
	v_mov_b32_e32 v24, v41
	v_bfi_b32 v28, v28, 0, 0
	v_bfi_b32 v27, v27, 0, v23
	v_cmp_eq_u64_e64 s[16:17], v[27:28], v[29:30]
	v_lshrrev_b64 v[27:28], v26, v[23:24]
	v_mov_b32_e32 v29, v28
	v_mov_b32_e32 v28, v27
	s_and_saveexec_b64 s[76:77], s[16:17]
; %bb.874:                              ;   in Loop: Header=BB0_738 Depth=2
	v_bfe_u32 v23, v27, 20, 1
	v_add_co_u32_e64 v23, s[16:17], v27, v23
	v_add_co_u32_e64 v28, s[16:17], -1, v23
; %bb.875:                              ;   in Loop: Header=BB0_738 Depth=2
	s_or_b64 exec, exec, s[76:77]
	v_add_u32_e32 v4, 0xffffff81, v4
	v_cndmask_b32_e32 v4, v4, v54, vcc
	v_lshrrev_b32_e32 v23, 23, v27
	v_add3_u32 v24, v26, v4, v23
	v_add_u32_e32 v23, 6, v24
	v_and_b32_e32 v4, 0xfffff, v28
	v_add_u32_e32 v27, v4, v27
	v_mov_b32_e32 v28, v41
	v_cmp_ne_u32_e32 vcc, 0, v23
                                        ; implicit-def: $vgpr4
	s_and_saveexec_b64 s[16:17], vcc
	s_xor_b64 s[16:17], exec, s[16:17]
; %bb.876:                              ;   in Loop: Header=BB0_738 Depth=2
	v_cmp_lt_u64_e32 vcc, s[58:59], v[27:28]
	v_add_u32_e32 v4, 7, v24
	v_cndmask_b32_e32 v4, v23, v4, vcc
	v_cndmask_b32_e64 v23, 0, 1, vcc
	v_lshrrev_b64 v[27:28], v23, v[27:28]
; %bb.877:                              ;   in Loop: Header=BB0_738 Depth=2
	s_andn2_saveexec_b64 s[16:17], s[16:17]
; %bb.878:                              ;   in Loop: Header=BB0_738 Depth=2
	v_bfe_u32 v4, v27, 23, 1
; %bb.879:                              ;   in Loop: Header=BB0_738 Depth=2
	s_or_b64 exec, exec, s[16:17]
	v_lshrrev_b64 v[23:24], 20, v[27:28]
	v_cmp_gt_i32_e32 vcc, 16, v4
	v_cndmask_b32_e32 v24, 0, v24, vcc
	v_cndmask_b32_e32 v23, 7, v23, vcc
	v_cmp_eq_u32_e32 vcc, 0, v4
	v_min_i32_e32 v4, 15, v4
	v_cmp_eq_u64_e64 s[16:17], 0, v[23:24]
	v_lshlrev_b32_e32 v4, 3, v4
	v_and_b32_e32 v4, 0xf8, v4
	v_and_or_b32 v4, v23, 7, v4
	s_and_b64 s[16:17], vcc, s[16:17]
	v_cndmask_b32_e64 v4, v4, 0, s[16:17]
	v_or_b32_e32 v26, v4, v0
.LBB0_880:                              ;   in Loop: Header=BB0_738 Depth=2
	s_or_b64 exec, exec, s[74:75]
                                        ; implicit-def: $vgpr0
.LBB0_881:                              ;   in Loop: Header=BB0_738 Depth=2
	s_andn2_saveexec_b64 s[16:17], s[72:73]
; %bb.882:                              ;   in Loop: Header=BB0_738 Depth=2
	v_or_b32_e32 v26, 0x7e, v0
; %bb.883:                              ;   in Loop: Header=BB0_738 Depth=2
	s_or_b64 exec, exec, s[16:17]
                                        ; implicit-def: $vgpr4
.LBB0_884:                              ;   in Loop: Header=BB0_738 Depth=2
	s_andn2_saveexec_b64 s[16:17], s[62:63]
; %bb.885:                              ;   in Loop: Header=BB0_738 Depth=2
	v_or_b32_sdwa v26, v4, s37 dst_sel:DWORD dst_unused:UNUSED_PAD src0_sel:BYTE_3 src1_sel:DWORD
; %bb.886:                              ;   in Loop: Header=BB0_738 Depth=2
	s_or_b64 exec, exec, s[16:17]
	v_and_b32_sdwa v23, v40, s35 dst_sel:DWORD dst_unused:UNUSED_PAD src0_sel:WORD_1 src1_sel:DWORD
	v_lshrrev_b32_e32 v0, 16, v40
	v_cmp_ne_u16_e32 vcc, 0, v23
	v_mov_b32_e32 v4, 0
	s_and_saveexec_b64 s[16:17], vcc
	s_cbranch_execz .LBB0_892
; %bb.887:                              ;   in Loop: Header=BB0_738 Depth=2
	v_cmp_ne_u16_e32 vcc, s36, v23
	v_bfrev_b32_e32 v4, 1
	s_and_saveexec_b64 s[62:63], vcc
	s_cbranch_execz .LBB0_891
; %bb.888:                              ;   in Loop: Header=BB0_738 Depth=2
	v_bfe_u32 v23, v40, 16, 7
	v_cmp_ne_u32_e32 vcc, s37, v23
	v_mov_b32_e32 v4, 0x7f800001
	s_and_saveexec_b64 s[72:73], vcc
	s_cbranch_execz .LBB0_890
; %bb.889:                              ;   in Loop: Header=BB0_738 Depth=2
	v_and_b32_e32 v4, 7, v0
	v_lshrrev_b32_e32 v27, 3, v23
	v_cmp_gt_u32_e32 vcc, 8, v23
	v_ffbh_u32_e32 v23, v4
	v_min_u32_e32 v28, 32, v23
	v_subrev_u32_e32 v23, 28, v28
	v_lshlrev_b64 v[23:24], v23, v[0:1]
	v_sub_u32_e32 v0, 29, v28
	v_and_b32_e32 v23, 7, v23
	v_cndmask_b32_e32 v0, v27, v0, vcc
	v_cndmask_b32_e32 v4, v4, v23, vcc
	v_lshlrev_b32_sdwa v23, v55, v40 dst_sel:DWORD dst_unused:UNUSED_PAD src0_sel:DWORD src1_sel:WORD_1
	v_lshlrev_b32_e32 v4, 20, v4
	v_and_b32_e32 v23, 0x80000000, v23
	v_lshl_add_u32 v0, v0, 23, v7
	v_or3_b32 v4, v23, v0, v4
.LBB0_890:                              ;   in Loop: Header=BB0_738 Depth=2
	s_or_b64 exec, exec, s[72:73]
.LBB0_891:                              ;   in Loop: Header=BB0_738 Depth=2
	s_or_b64 exec, exec, s[62:63]
.LBB0_892:                              ;   in Loop: Header=BB0_738 Depth=2
	s_or_b64 exec, exec, s[16:17]
	v_mul_f32_e32 v4, v62, v4
	v_and_b32_e32 v23, 0x7f800000, v4
	v_mov_b32_e32 v24, v41
	v_cmp_ne_u64_e32 vcc, s[46:47], v[23:24]
                                        ; implicit-def: $vgpr30
	s_and_saveexec_b64 s[16:17], vcc
	s_xor_b64 s[62:63], exec, s[16:17]
	s_cbranch_execz .LBB0_906
; %bb.893:                              ;   in Loop: Header=BB0_738 Depth=2
	v_and_b32_e32 v23, 0x7fffffff, v4
	v_mov_b32_e32 v24, v41
	v_cmp_gt_u64_e32 vcc, s[56:57], v[23:24]
	v_and_b32_sdwa v0, v4, s36 dst_sel:DWORD dst_unused:UNUSED_PAD src0_sel:BYTE_3 src1_sel:DWORD
                                        ; implicit-def: $vgpr30
	s_and_saveexec_b64 s[16:17], vcc
	s_xor_b64 s[72:73], exec, s[16:17]
	s_cbranch_execz .LBB0_903
; %bb.894:                              ;   in Loop: Header=BB0_738 Depth=2
	v_mov_b32_e32 v30, 0
	v_cmp_ne_u32_e32 vcc, 0, v4
	s_and_saveexec_b64 s[74:75], vcc
	s_cbranch_execz .LBB0_902
; %bb.895:                              ;   in Loop: Header=BB0_738 Depth=2
	v_and_b32_e32 v23, 0x7fffff, v4
	v_bfe_u32 v4, v4, 23, 8
	v_cmp_gt_u32_e64 s[16:17], s38, v4
	v_sub_u32_e32 v24, 0x79, v4
	v_cmp_eq_u32_e32 vcc, 0, v4
	v_cndmask_b32_e64 v24, 0, v24, s[16:17]
	v_or_b32_e32 v27, 0x800000, v23
	v_cndmask_b32_e32 v30, v24, v8, vcc
	v_cndmask_b32_e32 v23, v27, v23, vcc
	v_add_u32_e32 v27, 20, v30
	v_lshlrev_b64 v[27:28], v27, -1
	v_add_u32_e32 v29, 19, v30
	v_lshlrev_b64 v[44:45], v29, 1
	v_mov_b32_e32 v24, v41
	v_bfi_b32 v28, v28, 0, 0
	v_bfi_b32 v27, v27, 0, v23
	v_cmp_eq_u64_e64 s[16:17], v[27:28], v[44:45]
	v_lshrrev_b64 v[27:28], v30, v[23:24]
	v_mov_b32_e32 v29, v28
	v_mov_b32_e32 v28, v27
	s_and_saveexec_b64 s[76:77], s[16:17]
; %bb.896:                              ;   in Loop: Header=BB0_738 Depth=2
	v_bfe_u32 v23, v27, 20, 1
	v_add_co_u32_e64 v23, s[16:17], v27, v23
	v_add_co_u32_e64 v28, s[16:17], -1, v23
; %bb.897:                              ;   in Loop: Header=BB0_738 Depth=2
	s_or_b64 exec, exec, s[76:77]
	v_add_u32_e32 v4, 0xffffff81, v4
	v_cndmask_b32_e32 v4, v4, v54, vcc
	v_lshrrev_b32_e32 v23, 23, v27
	v_add3_u32 v24, v30, v4, v23
	v_add_u32_e32 v23, 6, v24
	v_and_b32_e32 v4, 0xfffff, v28
	v_add_u32_e32 v27, v4, v27
	v_mov_b32_e32 v28, v41
	v_cmp_ne_u32_e32 vcc, 0, v23
                                        ; implicit-def: $vgpr4
	s_and_saveexec_b64 s[16:17], vcc
	s_xor_b64 s[16:17], exec, s[16:17]
; %bb.898:                              ;   in Loop: Header=BB0_738 Depth=2
	v_cmp_lt_u64_e32 vcc, s[58:59], v[27:28]
	v_add_u32_e32 v4, 7, v24
	v_cndmask_b32_e32 v4, v23, v4, vcc
	v_cndmask_b32_e64 v23, 0, 1, vcc
	v_lshrrev_b64 v[27:28], v23, v[27:28]
; %bb.899:                              ;   in Loop: Header=BB0_738 Depth=2
	s_andn2_saveexec_b64 s[16:17], s[16:17]
; %bb.900:                              ;   in Loop: Header=BB0_738 Depth=2
	v_bfe_u32 v4, v27, 23, 1
; %bb.901:                              ;   in Loop: Header=BB0_738 Depth=2
	s_or_b64 exec, exec, s[16:17]
	v_lshrrev_b64 v[23:24], 20, v[27:28]
	v_cmp_gt_i32_e32 vcc, 16, v4
	v_cndmask_b32_e32 v24, 0, v24, vcc
	v_cndmask_b32_e32 v23, 7, v23, vcc
	v_cmp_eq_u32_e32 vcc, 0, v4
	v_min_i32_e32 v4, 15, v4
	v_cmp_eq_u64_e64 s[16:17], 0, v[23:24]
	v_lshlrev_b32_e32 v4, 3, v4
	v_and_b32_e32 v4, 0xf8, v4
	v_and_or_b32 v4, v23, 7, v4
	s_and_b64 s[16:17], vcc, s[16:17]
	v_cndmask_b32_e64 v4, v4, 0, s[16:17]
	v_or_b32_e32 v30, v4, v0
.LBB0_902:                              ;   in Loop: Header=BB0_738 Depth=2
	s_or_b64 exec, exec, s[74:75]
                                        ; implicit-def: $vgpr0
.LBB0_903:                              ;   in Loop: Header=BB0_738 Depth=2
	s_andn2_saveexec_b64 s[16:17], s[72:73]
; %bb.904:                              ;   in Loop: Header=BB0_738 Depth=2
	v_or_b32_e32 v30, 0x7e, v0
; %bb.905:                              ;   in Loop: Header=BB0_738 Depth=2
	s_or_b64 exec, exec, s[16:17]
                                        ; implicit-def: $vgpr4
.LBB0_906:                              ;   in Loop: Header=BB0_738 Depth=2
	s_andn2_saveexec_b64 s[16:17], s[62:63]
; %bb.907:                              ;   in Loop: Header=BB0_738 Depth=2
	v_or_b32_sdwa v30, v4, s37 dst_sel:DWORD dst_unused:UNUSED_PAD src0_sel:BYTE_3 src1_sel:DWORD
; %bb.908:                              ;   in Loop: Header=BB0_738 Depth=2
	s_or_b64 exec, exec, s[16:17]
	v_cmp_lt_u32_e32 vcc, s39, v40
	v_mov_b32_e32 v4, 0
	s_and_saveexec_b64 s[16:17], vcc
	s_cbranch_execz .LBB0_914
; %bb.909:                              ;   in Loop: Header=BB0_738 Depth=2
	v_lshrrev_b32_e32 v0, 24, v40
	v_cmp_ne_u32_sdwa s[72:73], v40, s36 src0_sel:BYTE_3 src1_sel:DWORD
	v_bfrev_b32_e32 v4, 1
	s_and_saveexec_b64 s[62:63], s[72:73]
	s_cbranch_execz .LBB0_913
; %bb.910:                              ;   in Loop: Header=BB0_738 Depth=2
	v_bfe_u32 v23, v40, 24, 7
	v_cmp_ne_u32_e32 vcc, s37, v23
	v_mov_b32_e32 v4, 0x7f800001
	s_and_saveexec_b64 s[72:73], vcc
	s_cbranch_execz .LBB0_912
; %bb.911:                              ;   in Loop: Header=BB0_738 Depth=2
	v_and_b32_e32 v4, 7, v0
	v_lshrrev_b32_e32 v27, 3, v23
	v_cmp_gt_u32_e32 vcc, 8, v23
	v_ffbh_u32_e32 v23, v4
	v_min_u32_e32 v28, 32, v23
	v_subrev_u32_e32 v23, 28, v28
	v_lshlrev_b64 v[23:24], v23, v[0:1]
	v_sub_u32_e32 v0, 29, v28
	v_and_b32_e32 v23, 7, v23
	v_cndmask_b32_e32 v0, v27, v0, vcc
	v_cndmask_b32_e32 v4, v4, v23, vcc
	v_lshlrev_b32_sdwa v23, v55, v40 dst_sel:DWORD dst_unused:UNUSED_PAD src0_sel:DWORD src1_sel:BYTE_3
	v_lshlrev_b32_e32 v4, 20, v4
	v_and_b32_e32 v23, 0x80000000, v23
	v_lshl_add_u32 v0, v0, 23, v7
	v_or3_b32 v4, v23, v0, v4
.LBB0_912:                              ;   in Loop: Header=BB0_738 Depth=2
	s_or_b64 exec, exec, s[72:73]
.LBB0_913:                              ;   in Loop: Header=BB0_738 Depth=2
	s_or_b64 exec, exec, s[62:63]
.LBB0_914:                              ;   in Loop: Header=BB0_738 Depth=2
	s_or_b64 exec, exec, s[16:17]
	v_mul_f32_e32 v4, v62, v4
	v_and_b32_e32 v40, 0x7f800000, v4
	v_cmp_ne_u64_e32 vcc, s[46:47], v[40:41]
                                        ; implicit-def: $vgpr32
	s_and_saveexec_b64 s[16:17], vcc
	s_xor_b64 s[62:63], exec, s[16:17]
	s_cbranch_execz .LBB0_928
; %bb.915:                              ;   in Loop: Header=BB0_738 Depth=2
	v_and_b32_e32 v40, 0x7fffffff, v4
	v_cmp_gt_u64_e32 vcc, s[56:57], v[40:41]
	v_and_b32_sdwa v0, v4, s36 dst_sel:DWORD dst_unused:UNUSED_PAD src0_sel:BYTE_3 src1_sel:DWORD
                                        ; implicit-def: $vgpr32
	s_and_saveexec_b64 s[16:17], vcc
	s_xor_b64 s[72:73], exec, s[16:17]
	s_cbranch_execz .LBB0_925
; %bb.916:                              ;   in Loop: Header=BB0_738 Depth=2
	v_mov_b32_e32 v32, 0
	v_cmp_ne_u32_e32 vcc, 0, v4
	s_and_saveexec_b64 s[74:75], vcc
	s_cbranch_execz .LBB0_924
; %bb.917:                              ;   in Loop: Header=BB0_738 Depth=2
	v_and_b32_e32 v23, 0x7fffff, v4
	v_bfe_u32 v4, v4, 23, 8
	v_cmp_gt_u32_e64 s[16:17], s38, v4
	v_sub_u32_e32 v24, 0x79, v4
	v_cmp_eq_u32_e32 vcc, 0, v4
	v_cndmask_b32_e64 v24, 0, v24, s[16:17]
	v_or_b32_e32 v27, 0x800000, v23
	v_cndmask_b32_e32 v32, v24, v8, vcc
	v_cndmask_b32_e32 v40, v27, v23, vcc
	v_add_u32_e32 v23, 20, v32
	v_lshlrev_b64 v[23:24], v23, -1
	v_add_u32_e32 v27, 19, v32
	v_lshlrev_b64 v[27:28], v27, 1
	v_bfi_b32 v24, v24, 0, 0
	v_bfi_b32 v23, v23, 0, v40
	v_cmp_eq_u64_e64 s[16:17], v[23:24], v[27:28]
	v_lshrrev_b64 v[27:28], v32, v[40:41]
	v_mov_b32_e32 v29, v28
	v_mov_b32_e32 v28, v27
	s_and_saveexec_b64 s[76:77], s[16:17]
; %bb.918:                              ;   in Loop: Header=BB0_738 Depth=2
	v_bfe_u32 v23, v27, 20, 1
	v_add_co_u32_e64 v23, s[16:17], v27, v23
	v_add_co_u32_e64 v28, s[16:17], -1, v23
; %bb.919:                              ;   in Loop: Header=BB0_738 Depth=2
	s_or_b64 exec, exec, s[76:77]
	v_add_u32_e32 v4, 0xffffff81, v4
	v_cndmask_b32_e32 v4, v4, v54, vcc
	v_lshrrev_b32_e32 v23, 23, v27
	v_add3_u32 v24, v32, v4, v23
	v_add_u32_e32 v23, 6, v24
	v_and_b32_e32 v4, 0xfffff, v28
	v_add_u32_e32 v40, v4, v27
	v_cmp_ne_u32_e32 vcc, 0, v23
                                        ; implicit-def: $vgpr27_vgpr28
                                        ; implicit-def: $vgpr4
	s_and_saveexec_b64 s[16:17], vcc
	s_xor_b64 s[16:17], exec, s[16:17]
; %bb.920:                              ;   in Loop: Header=BB0_738 Depth=2
	v_cmp_lt_u64_e32 vcc, s[58:59], v[40:41]
	v_add_u32_e32 v4, 7, v24
	v_cndmask_b32_e32 v4, v23, v4, vcc
	v_cndmask_b32_e64 v23, 0, 1, vcc
	v_lshrrev_b64 v[27:28], v23, v[40:41]
; %bb.921:                              ;   in Loop: Header=BB0_738 Depth=2
	s_andn2_saveexec_b64 s[16:17], s[16:17]
; %bb.922:                              ;   in Loop: Header=BB0_738 Depth=2
	v_mov_b32_e32 v27, v40
	v_bfe_u32 v4, v40, 23, 1
	v_mov_b32_e32 v28, v41
; %bb.923:                              ;   in Loop: Header=BB0_738 Depth=2
	s_or_b64 exec, exec, s[16:17]
	v_lshrrev_b64 v[23:24], 20, v[27:28]
	v_cmp_gt_i32_e32 vcc, 16, v4
	v_cndmask_b32_e32 v24, 0, v24, vcc
	v_cndmask_b32_e32 v23, 7, v23, vcc
	v_cmp_eq_u32_e32 vcc, 0, v4
	v_min_i32_e32 v4, 15, v4
	v_cmp_eq_u64_e64 s[16:17], 0, v[23:24]
	v_lshlrev_b32_e32 v4, 3, v4
	v_and_b32_e32 v4, 0xf8, v4
	v_and_or_b32 v4, v23, 7, v4
	s_and_b64 s[16:17], vcc, s[16:17]
	v_cndmask_b32_e64 v4, v4, 0, s[16:17]
	v_or_b32_e32 v32, v4, v0
.LBB0_924:                              ;   in Loop: Header=BB0_738 Depth=2
	s_or_b64 exec, exec, s[74:75]
                                        ; implicit-def: $vgpr0
.LBB0_925:                              ;   in Loop: Header=BB0_738 Depth=2
	s_andn2_saveexec_b64 s[16:17], s[72:73]
; %bb.926:                              ;   in Loop: Header=BB0_738 Depth=2
	v_or_b32_e32 v32, 0x7e, v0
; %bb.927:                              ;   in Loop: Header=BB0_738 Depth=2
	s_or_b64 exec, exec, s[16:17]
                                        ; implicit-def: $vgpr4
.LBB0_928:                              ;   in Loop: Header=BB0_738 Depth=2
	s_andn2_saveexec_b64 s[16:17], s[62:63]
; %bb.929:                              ;   in Loop: Header=BB0_738 Depth=2
	v_or_b32_sdwa v32, v4, s37 dst_sel:DWORD dst_unused:UNUSED_PAD src0_sel:BYTE_3 src1_sel:DWORD
; %bb.930:                              ;   in Loop: Header=BB0_738 Depth=2
	s_or_b64 exec, exec, s[16:17]
	s_waitcnt vmcnt(0)
	v_cmp_ne_u16_sdwa s[62:63], v17, v41 src0_sel:BYTE_0 src1_sel:DWORD
	v_mov_b32_e32 v0, 0
	v_mov_b32_e32 v27, 0
	s_and_saveexec_b64 s[16:17], s[62:63]
	s_cbranch_execz .LBB0_936
; %bb.931:                              ;   in Loop: Header=BB0_738 Depth=2
	v_cmp_ne_u16_sdwa s[72:73], v17, s36 src0_sel:BYTE_0 src1_sel:DWORD
	v_bfrev_b32_e32 v27, 1
	s_and_saveexec_b64 s[62:63], s[72:73]
	s_cbranch_execz .LBB0_935
; %bb.932:                              ;   in Loop: Header=BB0_738 Depth=2
	v_and_b32_e32 v4, 0x7f, v17
	v_cmp_ne_u32_e32 vcc, s37, v4
	v_mov_b32_e32 v27, 0x7f800001
	s_and_saveexec_b64 s[72:73], vcc
	s_cbranch_execz .LBB0_934
; %bb.933:                              ;   in Loop: Header=BB0_738 Depth=2
	v_and_b32_e32 v23, 7, v17
	v_lshrrev_b32_e32 v24, 3, v4
	v_cmp_gt_u32_e32 vcc, 8, v4
	v_ffbh_u32_e32 v4, v23
	v_min_u32_e32 v4, 32, v4
	v_subrev_u32_e32 v23, 28, v4
	v_sub_u32_e32 v4, 29, v4
	v_cndmask_b32_e32 v23, 0, v23, vcc
	v_cndmask_b32_e32 v4, v24, v4, vcc
	v_lshlrev_b64 v[23:24], v23, v[17:18]
	v_lshl_add_u32 v4, v4, 23, v7
	v_lshlrev_b32_e32 v18, 20, v23
	v_lshlrev_b32_e32 v23, 24, v17
	v_and_b32_e32 v18, 0x700000, v18
	v_and_b32_e32 v23, 0x80000000, v23
	v_or3_b32 v27, v23, v4, v18
.LBB0_934:                              ;   in Loop: Header=BB0_738 Depth=2
	s_or_b64 exec, exec, s[72:73]
.LBB0_935:                              ;   in Loop: Header=BB0_738 Depth=2
	s_or_b64 exec, exec, s[62:63]
.LBB0_936:                              ;   in Loop: Header=BB0_738 Depth=2
	s_or_b64 exec, exec, s[16:17]
	v_lshl_or_b32 v4, v11, 8, v9
	v_lshlrev_b32_e32 v11, 16, v31
	v_lshlrev_b32_e32 v18, 24, v33
	v_or3_b32 v40, v11, v18, v4
	v_cmp_ne_u32_e32 vcc, 0, v9
	s_and_saveexec_b64 s[16:17], vcc
	s_cbranch_execz .LBB0_942
; %bb.937:                              ;   in Loop: Header=BB0_738 Depth=2
	v_cmp_ne_u32_e32 vcc, s36, v9
	v_bfrev_b32_e32 v0, 1
	s_and_saveexec_b64 s[62:63], vcc
	s_cbranch_execz .LBB0_941
; %bb.938:                              ;   in Loop: Header=BB0_738 Depth=2
	v_and_b32_e32 v11, 0x7f, v9
	v_cmp_ne_u32_e32 vcc, s37, v11
	v_mov_b32_e32 v0, 0x7f800001
	s_and_saveexec_b64 s[72:73], vcc
	s_cbranch_execz .LBB0_940
; %bb.939:                              ;   in Loop: Header=BB0_738 Depth=2
	v_and_b32_e32 v0, 7, v9
	v_ffbh_u32_e32 v0, v0
	v_min_u32_e32 v0, 32, v0
	v_lshrrev_b32_e32 v9, 3, v11
	v_cmp_gt_u32_e32 vcc, 8, v11
	v_subrev_u32_e32 v11, 28, v0
	v_sub_u32_e32 v0, 29, v0
	v_cndmask_b32_e32 v0, v9, v0, vcc
	v_cndmask_b32_e32 v9, 0, v11, vcc
	v_lshlrev_b64 v[23:24], v9, v[40:41]
	v_lshlrev_b32_e32 v11, 24, v40
	v_lshlrev_b32_e32 v9, 20, v23
	v_and_b32_e32 v9, 0x700000, v9
	v_and_b32_e32 v11, 0x80000000, v11
	v_lshl_add_u32 v0, v0, 23, v7
	v_or3_b32 v0, v11, v0, v9
.LBB0_940:                              ;   in Loop: Header=BB0_738 Depth=2
	s_or_b64 exec, exec, s[72:73]
.LBB0_941:                              ;   in Loop: Header=BB0_738 Depth=2
	s_or_b64 exec, exec, s[62:63]
.LBB0_942:                              ;   in Loop: Header=BB0_738 Depth=2
	s_or_b64 exec, exec, s[16:17]
	v_add_f32_e32 v11, v27, v0
	v_and_b32_e32 v23, 0x7f800000, v11
	v_mov_b32_e32 v24, v41
	v_cmp_ne_u64_e32 vcc, s[46:47], v[23:24]
                                        ; implicit-def: $vgpr9
	s_and_saveexec_b64 s[16:17], vcc
	s_xor_b64 s[62:63], exec, s[16:17]
	s_cbranch_execz .LBB0_956
; %bb.943:                              ;   in Loop: Header=BB0_738 Depth=2
	v_and_b32_e32 v23, 0x7fffffff, v11
	v_mov_b32_e32 v24, v41
	v_cmp_gt_u64_e32 vcc, s[56:57], v[23:24]
	v_and_b32_sdwa v0, v11, s36 dst_sel:DWORD dst_unused:UNUSED_PAD src0_sel:BYTE_3 src1_sel:DWORD
                                        ; implicit-def: $vgpr9
	s_and_saveexec_b64 s[16:17], vcc
	s_xor_b64 s[72:73], exec, s[16:17]
	s_cbranch_execz .LBB0_953
; %bb.944:                              ;   in Loop: Header=BB0_738 Depth=2
	v_mov_b32_e32 v9, 0
	v_cmp_ne_u32_e32 vcc, 0, v11
	s_and_saveexec_b64 s[74:75], vcc
	s_cbranch_execz .LBB0_952
; %bb.945:                              ;   in Loop: Header=BB0_738 Depth=2
	v_bfe_u32 v9, v11, 23, 8
	v_and_b32_e32 v18, 0x7fffff, v11
	v_cmp_gt_u32_e64 s[16:17], s38, v9
	v_sub_u32_e32 v11, 0x79, v9
	v_cmp_eq_u32_e32 vcc, 0, v9
	v_cndmask_b32_e64 v11, 0, v11, s[16:17]
	v_or_b32_e32 v23, 0x800000, v18
	v_cndmask_b32_e32 v11, v11, v8, vcc
	v_cndmask_b32_e32 v23, v23, v18, vcc
	v_add_u32_e32 v18, 20, v11
	v_lshlrev_b64 v[27:28], v18, -1
	v_add_u32_e32 v18, 19, v11
	v_lshlrev_b64 v[44:45], v18, 1
	v_mov_b32_e32 v24, v41
	v_bfi_b32 v28, v28, 0, 0
	v_bfi_b32 v27, v27, 0, v23
	v_cmp_eq_u64_e64 s[16:17], v[27:28], v[44:45]
	v_lshrrev_b64 v[27:28], v11, v[23:24]
	v_mov_b32_e32 v29, v28
	v_mov_b32_e32 v28, v27
	s_and_saveexec_b64 s[76:77], s[16:17]
; %bb.946:                              ;   in Loop: Header=BB0_738 Depth=2
	v_bfe_u32 v18, v27, 20, 1
	v_add_co_u32_e64 v18, s[16:17], v27, v18
	v_add_co_u32_e64 v28, s[16:17], -1, v18
; %bb.947:                              ;   in Loop: Header=BB0_738 Depth=2
	s_or_b64 exec, exec, s[76:77]
	v_add_u32_e32 v9, 0xffffff81, v9
	v_cndmask_b32_e32 v9, v9, v54, vcc
	v_lshrrev_b32_e32 v18, 23, v27
	v_add3_u32 v18, v11, v9, v18
	v_add_u32_e32 v11, 6, v18
	v_and_b32_e32 v9, 0xfffff, v28
	v_add_u32_e32 v27, v9, v27
	v_mov_b32_e32 v28, v41
	v_cmp_ne_u32_e32 vcc, 0, v11
                                        ; implicit-def: $vgpr9
	s_and_saveexec_b64 s[16:17], vcc
	s_xor_b64 s[16:17], exec, s[16:17]
; %bb.948:                              ;   in Loop: Header=BB0_738 Depth=2
	v_cmp_lt_u64_e32 vcc, s[58:59], v[27:28]
	v_add_u32_e32 v9, 7, v18
	v_cndmask_b32_e32 v9, v11, v9, vcc
	v_cndmask_b32_e64 v11, 0, 1, vcc
	v_lshrrev_b64 v[27:28], v11, v[27:28]
; %bb.949:                              ;   in Loop: Header=BB0_738 Depth=2
	s_andn2_saveexec_b64 s[16:17], s[16:17]
; %bb.950:                              ;   in Loop: Header=BB0_738 Depth=2
	v_bfe_u32 v9, v27, 23, 1
; %bb.951:                              ;   in Loop: Header=BB0_738 Depth=2
	s_or_b64 exec, exec, s[16:17]
	v_lshrrev_b64 v[23:24], 20, v[27:28]
	v_cmp_gt_i32_e32 vcc, 16, v9
	v_cndmask_b32_e32 v24, 0, v24, vcc
	v_cndmask_b32_e32 v23, 7, v23, vcc
	v_cmp_eq_u32_e32 vcc, 0, v9
	v_min_i32_e32 v9, 15, v9
	v_cmp_eq_u64_e64 s[16:17], 0, v[23:24]
	v_lshlrev_b32_e32 v9, 3, v9
	v_and_b32_e32 v9, 0xf8, v9
	v_and_or_b32 v9, v23, 7, v9
	s_and_b64 s[16:17], vcc, s[16:17]
	v_cndmask_b32_e64 v9, v9, 0, s[16:17]
	v_or_b32_e32 v9, v9, v0
.LBB0_952:                              ;   in Loop: Header=BB0_738 Depth=2
	s_or_b64 exec, exec, s[74:75]
                                        ; implicit-def: $vgpr0
.LBB0_953:                              ;   in Loop: Header=BB0_738 Depth=2
	s_andn2_saveexec_b64 s[16:17], s[72:73]
; %bb.954:                              ;   in Loop: Header=BB0_738 Depth=2
	v_or_b32_e32 v9, 0x7e, v0
; %bb.955:                              ;   in Loop: Header=BB0_738 Depth=2
	s_or_b64 exec, exec, s[16:17]
                                        ; implicit-def: $vgpr11
.LBB0_956:                              ;   in Loop: Header=BB0_738 Depth=2
	s_andn2_saveexec_b64 s[16:17], s[62:63]
; %bb.957:                              ;   in Loop: Header=BB0_738 Depth=2
	v_or_b32_sdwa v9, v11, s37 dst_sel:DWORD dst_unused:UNUSED_PAD src0_sel:BYTE_3 src1_sel:DWORD
; %bb.958:                              ;   in Loop: Header=BB0_738 Depth=2
	s_or_b64 exec, exec, s[16:17]
	v_lshrrev_b16_e32 v0, 8, v17
	v_cmp_ne_u16_e32 vcc, 0, v0
	v_mov_b32_e32 v11, 0
	v_mov_b32_e32 v18, 0
	s_and_saveexec_b64 s[16:17], vcc
	s_cbranch_execz .LBB0_964
; %bb.959:                              ;   in Loop: Header=BB0_738 Depth=2
	v_cmp_ne_u16_e32 vcc, s36, v0
	v_bfrev_b32_e32 v18, 1
	s_and_saveexec_b64 s[62:63], vcc
	s_cbranch_execz .LBB0_963
; %bb.960:                              ;   in Loop: Header=BB0_738 Depth=2
	v_and_b32_e32 v23, 0x7f, v0
	v_cmp_ne_u32_e32 vcc, s37, v23
	v_mov_b32_e32 v18, 0x7f800001
	s_and_saveexec_b64 s[72:73], vcc
	s_cbranch_execz .LBB0_962
; %bb.961:                              ;   in Loop: Header=BB0_738 Depth=2
	v_and_b32_e32 v18, 7, v0
	v_lshrrev_b32_e32 v27, 3, v23
	v_cmp_gt_u32_e32 vcc, 8, v23
	v_ffbh_u32_e32 v23, v18
	v_min_u32_e32 v28, 32, v23
	v_subrev_u32_e32 v23, 28, v28
	v_lshlrev_b64 v[23:24], v23, v[0:1]
	v_sub_u32_e32 v0, 29, v28
	v_and_b32_e32 v23, 7, v23
	v_cndmask_b32_e32 v0, v27, v0, vcc
	v_cndmask_b32_e32 v18, v18, v23, vcc
	v_lshlrev_b32_e32 v23, 16, v17
	v_lshlrev_b32_e32 v18, 20, v18
	v_and_b32_e32 v23, 0x80000000, v23
	v_lshl_add_u32 v0, v0, 23, v7
	v_or3_b32 v18, v23, v0, v18
.LBB0_962:                              ;   in Loop: Header=BB0_738 Depth=2
	s_or_b64 exec, exec, s[72:73]
.LBB0_963:                              ;   in Loop: Header=BB0_738 Depth=2
	s_or_b64 exec, exec, s[62:63]
.LBB0_964:                              ;   in Loop: Header=BB0_738 Depth=2
	s_or_b64 exec, exec, s[16:17]
	v_lshrrev_b16_e32 v0, 8, v4
	v_cmp_ne_u16_e32 vcc, 0, v0
	s_and_saveexec_b64 s[16:17], vcc
	s_cbranch_execz .LBB0_970
; %bb.965:                              ;   in Loop: Header=BB0_738 Depth=2
	v_cmp_ne_u16_e32 vcc, s36, v0
	v_bfrev_b32_e32 v11, 1
	s_and_saveexec_b64 s[62:63], vcc
	s_cbranch_execz .LBB0_969
; %bb.966:                              ;   in Loop: Header=BB0_738 Depth=2
	v_and_b32_e32 v23, 0x7f, v0
	v_cmp_ne_u32_e32 vcc, s37, v23
	v_mov_b32_e32 v11, 0x7f800001
	s_and_saveexec_b64 s[72:73], vcc
	s_cbranch_execz .LBB0_968
; %bb.967:                              ;   in Loop: Header=BB0_738 Depth=2
	v_and_b32_e32 v11, 7, v0
	v_lshrrev_b32_e32 v27, 3, v23
	v_cmp_gt_u32_e32 vcc, 8, v23
	v_ffbh_u32_e32 v23, v11
	v_min_u32_e32 v28, 32, v23
	v_subrev_u32_e32 v23, 28, v28
	v_lshlrev_b64 v[23:24], v23, v[0:1]
	v_sub_u32_e32 v0, 29, v28
	v_and_b32_e32 v23, 7, v23
	v_cndmask_b32_e32 v0, v27, v0, vcc
	v_cndmask_b32_e32 v11, v11, v23, vcc
	v_lshlrev_b32_e32 v4, 16, v4
	v_lshlrev_b32_e32 v11, 20, v11
	v_and_b32_e32 v4, 0x80000000, v4
	v_lshl_add_u32 v0, v0, 23, v7
	v_or3_b32 v11, v4, v0, v11
.LBB0_968:                              ;   in Loop: Header=BB0_738 Depth=2
	s_or_b64 exec, exec, s[72:73]
.LBB0_969:                              ;   in Loop: Header=BB0_738 Depth=2
	s_or_b64 exec, exec, s[62:63]
.LBB0_970:                              ;   in Loop: Header=BB0_738 Depth=2
	s_or_b64 exec, exec, s[16:17]
	v_add_f32_e32 v4, v18, v11
	v_and_b32_e32 v23, 0x7f800000, v4
	v_mov_b32_e32 v24, v41
	v_cmp_ne_u64_e32 vcc, s[46:47], v[23:24]
                                        ; implicit-def: $vgpr11
	s_and_saveexec_b64 s[16:17], vcc
	s_xor_b64 s[62:63], exec, s[16:17]
	s_cbranch_execz .LBB0_984
; %bb.971:                              ;   in Loop: Header=BB0_738 Depth=2
	v_and_b32_e32 v23, 0x7fffffff, v4
	v_mov_b32_e32 v24, v41
	v_cmp_gt_u64_e32 vcc, s[56:57], v[23:24]
	v_and_b32_sdwa v0, v4, s36 dst_sel:DWORD dst_unused:UNUSED_PAD src0_sel:BYTE_3 src1_sel:DWORD
                                        ; implicit-def: $vgpr11
	s_and_saveexec_b64 s[16:17], vcc
	s_xor_b64 s[72:73], exec, s[16:17]
	s_cbranch_execz .LBB0_981
; %bb.972:                              ;   in Loop: Header=BB0_738 Depth=2
	v_mov_b32_e32 v11, 0
	v_cmp_ne_u32_e32 vcc, 0, v4
	s_and_saveexec_b64 s[74:75], vcc
	s_cbranch_execz .LBB0_980
; %bb.973:                              ;   in Loop: Header=BB0_738 Depth=2
	v_and_b32_e32 v18, 0x7fffff, v4
	v_bfe_u32 v4, v4, 23, 8
	v_cmp_gt_u32_e64 s[16:17], s38, v4
	v_sub_u32_e32 v11, 0x79, v4
	v_cmp_eq_u32_e32 vcc, 0, v4
	v_cndmask_b32_e64 v11, 0, v11, s[16:17]
	v_or_b32_e32 v23, 0x800000, v18
	v_cndmask_b32_e32 v11, v11, v8, vcc
	v_cndmask_b32_e32 v23, v23, v18, vcc
	v_add_u32_e32 v18, 20, v11
	v_lshlrev_b64 v[27:28], v18, -1
	v_add_u32_e32 v18, 19, v11
	v_lshlrev_b64 v[44:45], v18, 1
	v_mov_b32_e32 v24, v41
	v_bfi_b32 v28, v28, 0, 0
	v_bfi_b32 v27, v27, 0, v23
	v_cmp_eq_u64_e64 s[16:17], v[27:28], v[44:45]
	v_lshrrev_b64 v[27:28], v11, v[23:24]
	v_mov_b32_e32 v29, v28
	v_mov_b32_e32 v28, v27
	s_and_saveexec_b64 s[76:77], s[16:17]
; %bb.974:                              ;   in Loop: Header=BB0_738 Depth=2
	v_bfe_u32 v18, v27, 20, 1
	v_add_co_u32_e64 v18, s[16:17], v27, v18
	v_add_co_u32_e64 v28, s[16:17], -1, v18
; %bb.975:                              ;   in Loop: Header=BB0_738 Depth=2
	s_or_b64 exec, exec, s[76:77]
	v_add_u32_e32 v4, 0xffffff81, v4
	v_cndmask_b32_e32 v4, v4, v54, vcc
	v_lshrrev_b32_e32 v18, 23, v27
	v_add3_u32 v18, v11, v4, v18
	v_add_u32_e32 v11, 6, v18
	v_and_b32_e32 v4, 0xfffff, v28
	v_add_u32_e32 v27, v4, v27
	v_mov_b32_e32 v28, v41
	v_cmp_ne_u32_e32 vcc, 0, v11
                                        ; implicit-def: $vgpr4
	s_and_saveexec_b64 s[16:17], vcc
	s_xor_b64 s[16:17], exec, s[16:17]
; %bb.976:                              ;   in Loop: Header=BB0_738 Depth=2
	v_cmp_lt_u64_e32 vcc, s[58:59], v[27:28]
	v_add_u32_e32 v4, 7, v18
	v_cndmask_b32_e32 v4, v11, v4, vcc
	v_cndmask_b32_e64 v11, 0, 1, vcc
	v_lshrrev_b64 v[27:28], v11, v[27:28]
; %bb.977:                              ;   in Loop: Header=BB0_738 Depth=2
	s_andn2_saveexec_b64 s[16:17], s[16:17]
; %bb.978:                              ;   in Loop: Header=BB0_738 Depth=2
	v_bfe_u32 v4, v27, 23, 1
; %bb.979:                              ;   in Loop: Header=BB0_738 Depth=2
	s_or_b64 exec, exec, s[16:17]
	v_lshrrev_b64 v[23:24], 20, v[27:28]
	v_cmp_gt_i32_e32 vcc, 16, v4
	v_cndmask_b32_e32 v24, 0, v24, vcc
	v_cndmask_b32_e32 v23, 7, v23, vcc
	v_cmp_eq_u32_e32 vcc, 0, v4
	v_min_i32_e32 v4, 15, v4
	v_cmp_eq_u64_e64 s[16:17], 0, v[23:24]
	v_lshlrev_b32_e32 v4, 3, v4
	v_and_b32_e32 v4, 0xf8, v4
	v_and_or_b32 v4, v23, 7, v4
	s_and_b64 s[16:17], vcc, s[16:17]
	v_cndmask_b32_e64 v4, v4, 0, s[16:17]
	v_or_b32_e32 v11, v4, v0
.LBB0_980:                              ;   in Loop: Header=BB0_738 Depth=2
	s_or_b64 exec, exec, s[74:75]
                                        ; implicit-def: $vgpr0
.LBB0_981:                              ;   in Loop: Header=BB0_738 Depth=2
	s_andn2_saveexec_b64 s[16:17], s[72:73]
; %bb.982:                              ;   in Loop: Header=BB0_738 Depth=2
	v_or_b32_e32 v11, 0x7e, v0
; %bb.983:                              ;   in Loop: Header=BB0_738 Depth=2
	s_or_b64 exec, exec, s[16:17]
                                        ; implicit-def: $vgpr4
.LBB0_984:                              ;   in Loop: Header=BB0_738 Depth=2
	s_andn2_saveexec_b64 s[16:17], s[62:63]
; %bb.985:                              ;   in Loop: Header=BB0_738 Depth=2
	v_or_b32_sdwa v11, v4, s37 dst_sel:DWORD dst_unused:UNUSED_PAD src0_sel:BYTE_3 src1_sel:DWORD
; %bb.986:                              ;   in Loop: Header=BB0_738 Depth=2
	s_or_b64 exec, exec, s[16:17]
	v_lshrrev_b32_e32 v0, 16, v17
	v_cmp_ne_u16_sdwa s[62:63], v0, v41 src0_sel:BYTE_0 src1_sel:DWORD
	v_mov_b32_e32 v4, 0
	v_mov_b32_e32 v18, 0
	s_and_saveexec_b64 s[16:17], s[62:63]
	s_cbranch_execz .LBB0_992
; %bb.987:                              ;   in Loop: Header=BB0_738 Depth=2
	v_cmp_ne_u16_sdwa s[72:73], v0, s36 src0_sel:BYTE_0 src1_sel:DWORD
	v_bfrev_b32_e32 v18, 1
	s_and_saveexec_b64 s[62:63], s[72:73]
	s_cbranch_execz .LBB0_991
; %bb.988:                              ;   in Loop: Header=BB0_738 Depth=2
	v_bfe_u32 v23, v17, 16, 7
	v_cmp_ne_u32_e32 vcc, s37, v23
	v_mov_b32_e32 v18, 0x7f800001
	s_and_saveexec_b64 s[72:73], vcc
	s_cbranch_execz .LBB0_990
; %bb.989:                              ;   in Loop: Header=BB0_738 Depth=2
	v_and_b32_e32 v18, 7, v0
	v_lshrrev_b32_e32 v27, 3, v23
	v_cmp_gt_u32_e32 vcc, 8, v23
	v_ffbh_u32_e32 v23, v18
	v_min_u32_e32 v28, 32, v23
	v_subrev_u32_e32 v23, 28, v28
	v_lshlrev_b64 v[23:24], v23, v[0:1]
	v_sub_u32_e32 v24, 29, v28
	v_and_b32_e32 v23, 7, v23
	v_cndmask_b32_e32 v24, v27, v24, vcc
	v_cndmask_b32_e32 v18, v18, v23, vcc
	v_lshlrev_b32_e32 v0, 24, v0
	v_lshlrev_b32_e32 v18, 20, v18
	v_and_b32_e32 v0, 0x80000000, v0
	v_lshl_add_u32 v23, v24, 23, v7
	v_or3_b32 v18, v0, v23, v18
.LBB0_990:                              ;   in Loop: Header=BB0_738 Depth=2
	s_or_b64 exec, exec, s[72:73]
.LBB0_991:                              ;   in Loop: Header=BB0_738 Depth=2
	s_or_b64 exec, exec, s[62:63]
.LBB0_992:                              ;   in Loop: Header=BB0_738 Depth=2
	s_or_b64 exec, exec, s[16:17]
	v_and_b32_sdwa v23, v40, s35 dst_sel:DWORD dst_unused:UNUSED_PAD src0_sel:WORD_1 src1_sel:DWORD
	v_lshrrev_b32_e32 v0, 16, v40
	v_cmp_ne_u16_e32 vcc, 0, v23
	s_and_saveexec_b64 s[16:17], vcc
	s_cbranch_execz .LBB0_998
; %bb.993:                              ;   in Loop: Header=BB0_738 Depth=2
	v_cmp_ne_u16_e32 vcc, s36, v23
	v_bfrev_b32_e32 v4, 1
	s_and_saveexec_b64 s[62:63], vcc
	s_cbranch_execz .LBB0_997
; %bb.994:                              ;   in Loop: Header=BB0_738 Depth=2
	v_bfe_u32 v23, v40, 16, 7
	v_cmp_ne_u32_e32 vcc, s37, v23
	v_mov_b32_e32 v4, 0x7f800001
	s_and_saveexec_b64 s[72:73], vcc
	s_cbranch_execz .LBB0_996
; %bb.995:                              ;   in Loop: Header=BB0_738 Depth=2
	v_and_b32_e32 v4, 7, v0
	v_lshrrev_b32_e32 v27, 3, v23
	v_cmp_gt_u32_e32 vcc, 8, v23
	v_ffbh_u32_e32 v23, v4
	v_min_u32_e32 v28, 32, v23
	v_subrev_u32_e32 v23, 28, v28
	v_lshlrev_b64 v[23:24], v23, v[0:1]
	v_sub_u32_e32 v0, 29, v28
	v_and_b32_e32 v23, 7, v23
	v_cndmask_b32_e32 v0, v27, v0, vcc
	v_cndmask_b32_e32 v4, v4, v23, vcc
	v_lshlrev_b32_e32 v23, 8, v40
	v_lshlrev_b32_e32 v4, 20, v4
	v_and_b32_e32 v23, 0x80000000, v23
	v_lshl_add_u32 v0, v0, 23, v7
	v_or3_b32 v4, v23, v0, v4
.LBB0_996:                              ;   in Loop: Header=BB0_738 Depth=2
	s_or_b64 exec, exec, s[72:73]
.LBB0_997:                              ;   in Loop: Header=BB0_738 Depth=2
	s_or_b64 exec, exec, s[62:63]
.LBB0_998:                              ;   in Loop: Header=BB0_738 Depth=2
	s_or_b64 exec, exec, s[16:17]
	v_add_f32_e32 v4, v18, v4
	v_and_b32_e32 v23, 0x7f800000, v4
	v_mov_b32_e32 v24, v41
	v_cmp_ne_u64_e32 vcc, s[46:47], v[23:24]
                                        ; implicit-def: $vgpr29
	s_and_saveexec_b64 s[16:17], vcc
	s_xor_b64 s[62:63], exec, s[16:17]
	s_cbranch_execz .LBB0_1012
; %bb.999:                              ;   in Loop: Header=BB0_738 Depth=2
	v_and_b32_e32 v23, 0x7fffffff, v4
	v_mov_b32_e32 v24, v41
	v_cmp_gt_u64_e32 vcc, s[56:57], v[23:24]
	v_and_b32_sdwa v0, v4, s36 dst_sel:DWORD dst_unused:UNUSED_PAD src0_sel:BYTE_3 src1_sel:DWORD
                                        ; implicit-def: $vgpr29
	s_and_saveexec_b64 s[16:17], vcc
	s_xor_b64 s[72:73], exec, s[16:17]
	s_cbranch_execz .LBB0_1009
; %bb.1000:                             ;   in Loop: Header=BB0_738 Depth=2
	v_mov_b32_e32 v29, 0
	v_cmp_ne_u32_e32 vcc, 0, v4
	s_and_saveexec_b64 s[74:75], vcc
	s_cbranch_execz .LBB0_1008
; %bb.1001:                             ;   in Loop: Header=BB0_738 Depth=2
	v_and_b32_e32 v23, 0x7fffff, v4
	v_bfe_u32 v4, v4, 23, 8
	v_cmp_gt_u32_e64 s[16:17], s38, v4
	v_sub_u32_e32 v18, 0x79, v4
	v_cmp_eq_u32_e32 vcc, 0, v4
	v_cndmask_b32_e64 v18, 0, v18, s[16:17]
	v_cndmask_b32_e32 v18, v18, v8, vcc
	v_add_u32_e32 v27, 20, v18
	v_or_b32_e32 v24, 0x800000, v23
	v_lshlrev_b64 v[27:28], v27, -1
	v_add_u32_e32 v29, 19, v18
	v_cndmask_b32_e32 v23, v24, v23, vcc
	v_lshlrev_b64 v[44:45], v29, 1
	v_mov_b32_e32 v24, v41
	v_bfi_b32 v28, v28, 0, 0
	v_bfi_b32 v27, v27, 0, v23
	v_cmp_eq_u64_e64 s[16:17], v[27:28], v[44:45]
	v_lshrrev_b64 v[27:28], v18, v[23:24]
	v_mov_b32_e32 v29, v28
	v_mov_b32_e32 v28, v27
	s_and_saveexec_b64 s[76:77], s[16:17]
; %bb.1002:                             ;   in Loop: Header=BB0_738 Depth=2
	v_bfe_u32 v23, v27, 20, 1
	v_add_co_u32_e64 v23, s[16:17], v27, v23
	v_add_co_u32_e64 v28, s[16:17], -1, v23
; %bb.1003:                             ;   in Loop: Header=BB0_738 Depth=2
	s_or_b64 exec, exec, s[76:77]
	v_add_u32_e32 v4, 0xffffff81, v4
	v_cndmask_b32_e32 v4, v4, v54, vcc
	v_lshrrev_b32_e32 v23, 23, v27
	v_add3_u32 v23, v18, v4, v23
	v_add_u32_e32 v18, 6, v23
	v_and_b32_e32 v4, 0xfffff, v28
	v_add_u32_e32 v27, v4, v27
	v_mov_b32_e32 v28, v41
	v_cmp_ne_u32_e32 vcc, 0, v18
                                        ; implicit-def: $vgpr4
	s_and_saveexec_b64 s[16:17], vcc
	s_xor_b64 s[16:17], exec, s[16:17]
; %bb.1004:                             ;   in Loop: Header=BB0_738 Depth=2
	v_cmp_lt_u64_e32 vcc, s[58:59], v[27:28]
	v_add_u32_e32 v4, 7, v23
	v_cndmask_b32_e32 v4, v18, v4, vcc
	v_cndmask_b32_e64 v18, 0, 1, vcc
	v_lshrrev_b64 v[27:28], v18, v[27:28]
; %bb.1005:                             ;   in Loop: Header=BB0_738 Depth=2
	s_andn2_saveexec_b64 s[16:17], s[16:17]
; %bb.1006:                             ;   in Loop: Header=BB0_738 Depth=2
	v_bfe_u32 v4, v27, 23, 1
; %bb.1007:                             ;   in Loop: Header=BB0_738 Depth=2
	s_or_b64 exec, exec, s[16:17]
	v_lshrrev_b64 v[23:24], 20, v[27:28]
	v_cmp_gt_i32_e32 vcc, 16, v4
	v_cndmask_b32_e32 v24, 0, v24, vcc
	v_cndmask_b32_e32 v23, 7, v23, vcc
	v_cmp_eq_u32_e32 vcc, 0, v4
	v_min_i32_e32 v4, 15, v4
	v_cmp_eq_u64_e64 s[16:17], 0, v[23:24]
	v_lshlrev_b32_e32 v4, 3, v4
	v_and_b32_e32 v4, 0xf8, v4
	v_and_or_b32 v4, v23, 7, v4
	s_and_b64 s[16:17], vcc, s[16:17]
	v_cndmask_b32_e64 v4, v4, 0, s[16:17]
	v_or_b32_e32 v29, v4, v0
.LBB0_1008:                             ;   in Loop: Header=BB0_738 Depth=2
	s_or_b64 exec, exec, s[74:75]
                                        ; implicit-def: $vgpr0
.LBB0_1009:                             ;   in Loop: Header=BB0_738 Depth=2
	s_andn2_saveexec_b64 s[16:17], s[72:73]
; %bb.1010:                             ;   in Loop: Header=BB0_738 Depth=2
	v_or_b32_e32 v29, 0x7e, v0
; %bb.1011:                             ;   in Loop: Header=BB0_738 Depth=2
	s_or_b64 exec, exec, s[16:17]
                                        ; implicit-def: $vgpr4
.LBB0_1012:                             ;   in Loop: Header=BB0_738 Depth=2
	s_andn2_saveexec_b64 s[16:17], s[62:63]
; %bb.1013:                             ;   in Loop: Header=BB0_738 Depth=2
	v_or_b32_sdwa v29, v4, s37 dst_sel:DWORD dst_unused:UNUSED_PAD src0_sel:BYTE_3 src1_sel:DWORD
; %bb.1014:                             ;   in Loop: Header=BB0_738 Depth=2
	s_or_b64 exec, exec, s[16:17]
	v_cmp_lt_u32_e32 vcc, s39, v17
	v_mov_b32_e32 v4, 0
	v_mov_b32_e32 v18, 0
	s_and_saveexec_b64 s[16:17], vcc
	s_cbranch_execz .LBB0_1020
; %bb.1015:                             ;   in Loop: Header=BB0_738 Depth=2
	v_lshrrev_b32_e32 v0, 24, v17
	v_cmp_ne_u32_e32 vcc, s36, v0
	v_bfrev_b32_e32 v18, 1
	s_and_saveexec_b64 s[62:63], vcc
	s_cbranch_execz .LBB0_1019
; %bb.1016:                             ;   in Loop: Header=BB0_738 Depth=2
	v_bfe_u32 v17, v17, 24, 7
	v_cmp_ne_u32_e32 vcc, s37, v17
	v_mov_b32_e32 v18, 0x7f800001
	s_and_saveexec_b64 s[72:73], vcc
	s_cbranch_execz .LBB0_1018
; %bb.1017:                             ;   in Loop: Header=BB0_738 Depth=2
	v_and_b32_e32 v23, 7, v0
	v_lshrrev_b32_e32 v24, 3, v17
	v_cmp_gt_u32_e32 vcc, 8, v17
	v_ffbh_u32_e32 v17, v23
	v_min_u32_e32 v27, 32, v17
	v_subrev_u32_e32 v17, 28, v27
	v_lshlrev_b64 v[17:18], v17, v[0:1]
	v_sub_u32_e32 v18, 29, v27
	v_and_b32_e32 v17, 7, v17
	v_cndmask_b32_e32 v18, v24, v18, vcc
	v_cndmask_b32_e32 v17, v23, v17, vcc
	v_lshlrev_b32_e32 v0, 24, v0
	v_lshlrev_b32_e32 v17, 20, v17
	v_and_b32_e32 v0, 0x80000000, v0
	v_lshl_add_u32 v18, v18, 23, v7
	v_or3_b32 v18, v0, v18, v17
.LBB0_1018:                             ;   in Loop: Header=BB0_738 Depth=2
	s_or_b64 exec, exec, s[72:73]
.LBB0_1019:                             ;   in Loop: Header=BB0_738 Depth=2
	s_or_b64 exec, exec, s[62:63]
.LBB0_1020:                             ;   in Loop: Header=BB0_738 Depth=2
	s_or_b64 exec, exec, s[16:17]
	v_cmp_lt_u32_e32 vcc, s39, v40
	s_and_saveexec_b64 s[16:17], vcc
	s_cbranch_execz .LBB0_1026
; %bb.1021:                             ;   in Loop: Header=BB0_738 Depth=2
	v_lshrrev_b32_e32 v0, 24, v40
	v_cmp_ne_u32_e32 vcc, s36, v0
	v_bfrev_b32_e32 v4, 1
	s_and_saveexec_b64 s[62:63], vcc
	s_cbranch_execz .LBB0_1025
; %bb.1022:                             ;   in Loop: Header=BB0_738 Depth=2
	v_bfe_u32 v17, v40, 24, 7
	v_cmp_ne_u32_e32 vcc, s37, v17
	v_mov_b32_e32 v4, 0x7f800001
	s_and_saveexec_b64 s[72:73], vcc
	s_cbranch_execz .LBB0_1024
; %bb.1023:                             ;   in Loop: Header=BB0_738 Depth=2
	v_and_b32_e32 v4, 7, v0
	v_lshrrev_b32_e32 v27, 3, v17
	v_cmp_gt_u32_e32 vcc, 8, v17
	v_ffbh_u32_e32 v17, v4
	v_min_u32_e32 v17, 32, v17
	v_subrev_u32_e32 v23, 28, v17
	v_lshlrev_b64 v[23:24], v23, v[0:1]
	v_sub_u32_e32 v17, 29, v17
	v_and_b32_e32 v23, 7, v23
	v_cndmask_b32_e32 v17, v27, v17, vcc
	v_cndmask_b32_e32 v4, v4, v23, vcc
	v_lshlrev_b32_e32 v0, 24, v0
	v_lshlrev_b32_e32 v4, 20, v4
	v_and_b32_e32 v0, 0x80000000, v0
	v_lshl_add_u32 v17, v17, 23, v7
	v_or3_b32 v4, v0, v17, v4
.LBB0_1024:                             ;   in Loop: Header=BB0_738 Depth=2
	s_or_b64 exec, exec, s[72:73]
.LBB0_1025:                             ;   in Loop: Header=BB0_738 Depth=2
	s_or_b64 exec, exec, s[62:63]
.LBB0_1026:                             ;   in Loop: Header=BB0_738 Depth=2
	s_or_b64 exec, exec, s[16:17]
	v_add_f32_e32 v4, v18, v4
	v_and_b32_e32 v40, 0x7f800000, v4
	v_cmp_ne_u64_e32 vcc, s[46:47], v[40:41]
                                        ; implicit-def: $vgpr31
	s_and_saveexec_b64 s[16:17], vcc
	s_xor_b64 s[62:63], exec, s[16:17]
	s_cbranch_execz .LBB0_1040
; %bb.1027:                             ;   in Loop: Header=BB0_738 Depth=2
	v_and_b32_e32 v40, 0x7fffffff, v4
	v_cmp_gt_u64_e32 vcc, s[56:57], v[40:41]
	v_and_b32_sdwa v0, v4, s36 dst_sel:DWORD dst_unused:UNUSED_PAD src0_sel:BYTE_3 src1_sel:DWORD
                                        ; implicit-def: $vgpr31
	s_and_saveexec_b64 s[16:17], vcc
	s_xor_b64 s[72:73], exec, s[16:17]
	s_cbranch_execz .LBB0_1037
; %bb.1028:                             ;   in Loop: Header=BB0_738 Depth=2
	v_mov_b32_e32 v31, 0
	v_cmp_ne_u32_e32 vcc, 0, v4
	s_and_saveexec_b64 s[74:75], vcc
	s_cbranch_execz .LBB0_1036
; %bb.1029:                             ;   in Loop: Header=BB0_738 Depth=2
	v_and_b32_e32 v17, 0x7fffff, v4
	v_bfe_u32 v4, v4, 23, 8
	v_cmp_gt_u32_e64 s[16:17], s38, v4
	v_sub_u32_e32 v18, 0x79, v4
	v_cmp_eq_u32_e32 vcc, 0, v4
	v_cndmask_b32_e64 v18, 0, v18, s[16:17]
	v_or_b32_e32 v23, 0x800000, v17
	v_cndmask_b32_e32 v31, v18, v8, vcc
	v_cndmask_b32_e32 v40, v23, v17, vcc
	v_add_u32_e32 v17, 20, v31
	v_lshlrev_b64 v[17:18], v17, -1
	v_add_u32_e32 v23, 19, v31
	v_lshlrev_b64 v[23:24], v23, 1
	v_bfi_b32 v18, v18, 0, 0
	v_bfi_b32 v17, v17, 0, v40
	v_cmp_eq_u64_e64 s[16:17], v[17:18], v[23:24]
	v_lshrrev_b64 v[17:18], v31, v[40:41]
	v_mov_b32_e32 v28, v18
	v_mov_b32_e32 v27, v17
	s_and_saveexec_b64 s[76:77], s[16:17]
; %bb.1030:                             ;   in Loop: Header=BB0_738 Depth=2
	v_bfe_u32 v18, v17, 20, 1
	v_add_co_u32_e64 v18, s[16:17], v17, v18
	v_add_co_u32_e64 v27, s[16:17], -1, v18
; %bb.1031:                             ;   in Loop: Header=BB0_738 Depth=2
	s_or_b64 exec, exec, s[76:77]
	v_add_u32_e32 v4, 0xffffff81, v4
	v_cndmask_b32_e32 v4, v4, v54, vcc
	v_lshrrev_b32_e32 v18, 23, v17
	v_add3_u32 v24, v31, v4, v18
	v_add_u32_e32 v23, 6, v24
	v_and_b32_e32 v4, 0xfffff, v27
	v_add_u32_e32 v40, v4, v17
	v_cmp_ne_u32_e32 vcc, 0, v23
                                        ; implicit-def: $vgpr17_vgpr18
                                        ; implicit-def: $vgpr4
	s_and_saveexec_b64 s[16:17], vcc
	s_xor_b64 s[16:17], exec, s[16:17]
; %bb.1032:                             ;   in Loop: Header=BB0_738 Depth=2
	v_cmp_lt_u64_e32 vcc, s[58:59], v[40:41]
	v_add_u32_e32 v4, 7, v24
	v_cndmask_b32_e64 v17, 0, 1, vcc
	v_cndmask_b32_e32 v4, v23, v4, vcc
	v_lshrrev_b64 v[17:18], v17, v[40:41]
; %bb.1033:                             ;   in Loop: Header=BB0_738 Depth=2
	s_andn2_saveexec_b64 s[16:17], s[16:17]
; %bb.1034:                             ;   in Loop: Header=BB0_738 Depth=2
	v_mov_b32_e32 v17, v40
	v_bfe_u32 v4, v40, 23, 1
	v_mov_b32_e32 v18, v41
; %bb.1035:                             ;   in Loop: Header=BB0_738 Depth=2
	s_or_b64 exec, exec, s[16:17]
	v_lshrrev_b64 v[17:18], 20, v[17:18]
	v_cmp_gt_i32_e32 vcc, 16, v4
	v_cndmask_b32_e32 v18, 0, v18, vcc
	v_cndmask_b32_e32 v17, 7, v17, vcc
	v_cmp_eq_u32_e32 vcc, 0, v4
	v_min_i32_e32 v4, 15, v4
	v_cmp_eq_u64_e64 s[16:17], 0, v[17:18]
	v_lshlrev_b32_e32 v4, 3, v4
	v_and_b32_e32 v4, 0xf8, v4
	v_and_or_b32 v4, v17, 7, v4
	s_and_b64 s[16:17], vcc, s[16:17]
	v_cndmask_b32_e64 v4, v4, 0, s[16:17]
	v_or_b32_e32 v31, v4, v0
.LBB0_1036:                             ;   in Loop: Header=BB0_738 Depth=2
	s_or_b64 exec, exec, s[74:75]
                                        ; implicit-def: $vgpr0
.LBB0_1037:                             ;   in Loop: Header=BB0_738 Depth=2
	s_andn2_saveexec_b64 s[16:17], s[72:73]
; %bb.1038:                             ;   in Loop: Header=BB0_738 Depth=2
	v_or_b32_e32 v31, 0x7e, v0
; %bb.1039:                             ;   in Loop: Header=BB0_738 Depth=2
	s_or_b64 exec, exec, s[16:17]
                                        ; implicit-def: $vgpr4
.LBB0_1040:                             ;   in Loop: Header=BB0_738 Depth=2
	s_andn2_saveexec_b64 s[16:17], s[62:63]
; %bb.1041:                             ;   in Loop: Header=BB0_738 Depth=2
	v_or_b32_sdwa v31, v4, s37 dst_sel:DWORD dst_unused:UNUSED_PAD src0_sel:BYTE_3 src1_sel:DWORD
; %bb.1042:                             ;   in Loop: Header=BB0_738 Depth=2
	s_or_b64 exec, exec, s[16:17]
	v_cmp_ne_u16_sdwa s[62:63], v19, v41 src0_sel:BYTE_0 src1_sel:DWORD
	v_mov_b32_e32 v0, 0
	v_mov_b32_e32 v4, 0
	s_and_saveexec_b64 s[16:17], s[62:63]
	s_cbranch_execz .LBB0_1048
; %bb.1043:                             ;   in Loop: Header=BB0_738 Depth=2
	v_cmp_ne_u16_sdwa s[72:73], v19, s36 src0_sel:BYTE_0 src1_sel:DWORD
	v_bfrev_b32_e32 v4, 1
	s_and_saveexec_b64 s[62:63], s[72:73]
	s_cbranch_execz .LBB0_1047
; %bb.1044:                             ;   in Loop: Header=BB0_738 Depth=2
	v_and_b32_e32 v17, 0x7f, v19
	v_cmp_ne_u32_e32 vcc, s37, v17
	v_mov_b32_e32 v4, 0x7f800001
	s_and_saveexec_b64 s[72:73], vcc
	s_cbranch_execz .LBB0_1046
; %bb.1045:                             ;   in Loop: Header=BB0_738 Depth=2
	v_and_b32_e32 v4, 7, v19
	v_ffbh_u32_e32 v4, v4
	v_min_u32_e32 v4, 32, v4
	v_lshrrev_b32_e32 v18, 3, v17
	v_cmp_gt_u32_e32 vcc, 8, v17
	v_subrev_u32_e32 v17, 28, v4
	v_sub_u32_e32 v4, 29, v4
	v_cndmask_b32_e32 v17, 0, v17, vcc
	v_cndmask_b32_e32 v4, v18, v4, vcc
	v_lshlrev_b64 v[17:18], v17, v[19:20]
	v_lshlrev_b32_e32 v18, 24, v19
	v_lshlrev_b32_e32 v17, 20, v17
	v_and_b32_e32 v17, 0x700000, v17
	v_and_b32_e32 v18, 0x80000000, v18
	v_lshl_add_u32 v4, v4, 23, v7
	v_or3_b32 v4, v18, v4, v17
.LBB0_1046:                             ;   in Loop: Header=BB0_738 Depth=2
	s_or_b64 exec, exec, s[72:73]
.LBB0_1047:                             ;   in Loop: Header=BB0_738 Depth=2
	s_or_b64 exec, exec, s[62:63]
.LBB0_1048:                             ;   in Loop: Header=BB0_738 Depth=2
	s_or_b64 exec, exec, s[16:17]
	v_lshlrev_b32_e32 v17, 24, v32
	v_lshlrev_b32_e32 v18, 16, v30
	v_lshl_or_b32 v20, v26, 8, v10
	v_or3_b32 v40, v18, v17, v20
	v_cmp_ne_u32_e32 vcc, 0, v10
	s_and_saveexec_b64 s[16:17], vcc
	s_cbranch_execz .LBB0_1054
; %bb.1049:                             ;   in Loop: Header=BB0_738 Depth=2
	v_cmp_ne_u32_e32 vcc, s36, v10
	v_bfrev_b32_e32 v0, 1
	s_and_saveexec_b64 s[62:63], vcc
	s_cbranch_execz .LBB0_1053
; %bb.1050:                             ;   in Loop: Header=BB0_738 Depth=2
	v_and_b32_e32 v17, 0x7f, v10
	v_cmp_ne_u32_e32 vcc, s37, v17
	v_mov_b32_e32 v0, 0x7f800001
	s_and_saveexec_b64 s[72:73], vcc
	s_cbranch_execz .LBB0_1052
; %bb.1051:                             ;   in Loop: Header=BB0_738 Depth=2
	v_and_b32_e32 v0, 7, v10
	v_ffbh_u32_e32 v0, v0
	v_min_u32_e32 v0, 32, v0
	v_lshrrev_b32_e32 v10, 3, v17
	v_cmp_gt_u32_e32 vcc, 8, v17
	v_subrev_u32_e32 v17, 28, v0
	v_sub_u32_e32 v0, 29, v0
	v_cndmask_b32_e32 v0, v10, v0, vcc
	v_cndmask_b32_e32 v10, 0, v17, vcc
	v_lshlrev_b64 v[17:18], v10, v[40:41]
	v_lshl_add_u32 v0, v0, 23, v7
	v_lshlrev_b32_e32 v10, 20, v17
	v_lshlrev_b32_e32 v17, 24, v40
	v_and_b32_e32 v10, 0x700000, v10
	v_and_b32_e32 v17, 0x80000000, v17
	v_or3_b32 v0, v17, v0, v10
.LBB0_1052:                             ;   in Loop: Header=BB0_738 Depth=2
	s_or_b64 exec, exec, s[72:73]
.LBB0_1053:                             ;   in Loop: Header=BB0_738 Depth=2
	s_or_b64 exec, exec, s[62:63]
.LBB0_1054:                             ;   in Loop: Header=BB0_738 Depth=2
	s_or_b64 exec, exec, s[16:17]
	v_add_f32_e32 v10, v4, v0
	v_and_b32_e32 v17, 0x7f800000, v10
	v_mov_b32_e32 v18, v41
	v_cmp_ne_u64_e32 vcc, s[46:47], v[17:18]
                                        ; implicit-def: $vgpr4
	s_and_saveexec_b64 s[16:17], vcc
	s_xor_b64 s[62:63], exec, s[16:17]
	s_cbranch_execz .LBB0_1068
; %bb.1055:                             ;   in Loop: Header=BB0_738 Depth=2
	v_and_b32_e32 v17, 0x7fffffff, v10
	v_mov_b32_e32 v18, v41
	v_cmp_gt_u64_e32 vcc, s[56:57], v[17:18]
	v_and_b32_sdwa v0, v10, s36 dst_sel:DWORD dst_unused:UNUSED_PAD src0_sel:BYTE_3 src1_sel:DWORD
                                        ; implicit-def: $vgpr4
	s_and_saveexec_b64 s[16:17], vcc
	s_xor_b64 s[72:73], exec, s[16:17]
	s_cbranch_execz .LBB0_1065
; %bb.1056:                             ;   in Loop: Header=BB0_738 Depth=2
	v_mov_b32_e32 v4, 0
	v_cmp_ne_u32_e32 vcc, 0, v10
	s_and_saveexec_b64 s[74:75], vcc
	s_cbranch_execz .LBB0_1064
; %bb.1057:                             ;   in Loop: Header=BB0_738 Depth=2
	v_bfe_u32 v4, v10, 23, 8
	v_and_b32_e32 v17, 0x7fffff, v10
	v_cmp_gt_u32_e64 s[16:17], s38, v4
	v_sub_u32_e32 v10, 0x79, v4
	v_cmp_eq_u32_e32 vcc, 0, v4
	v_cndmask_b32_e64 v10, 0, v10, s[16:17]
	v_cndmask_b32_e32 v10, v10, v8, vcc
	v_add_u32_e32 v23, 20, v10
	v_or_b32_e32 v18, 0x800000, v17
	v_lshlrev_b64 v[23:24], v23, -1
	v_cndmask_b32_e32 v17, v18, v17, vcc
	v_mov_b32_e32 v18, v41
	v_add_u32_e32 v26, 19, v10
	v_bfi_b32 v23, v23, 0, v17
	v_lshlrev_b64 v[26:27], v26, 1
	v_lshrrev_b64 v[17:18], v10, v[17:18]
	v_bfi_b32 v24, v24, 0, 0
	v_cmp_eq_u64_e64 s[16:17], v[23:24], v[26:27]
	v_mov_b32_e32 v28, v18
	v_mov_b32_e32 v27, v17
	s_and_saveexec_b64 s[76:77], s[16:17]
; %bb.1058:                             ;   in Loop: Header=BB0_738 Depth=2
	v_bfe_u32 v18, v17, 20, 1
	v_add_co_u32_e64 v18, s[16:17], v17, v18
	v_add_co_u32_e64 v27, s[16:17], -1, v18
; %bb.1059:                             ;   in Loop: Header=BB0_738 Depth=2
	s_or_b64 exec, exec, s[76:77]
	v_add_u32_e32 v4, 0xffffff81, v4
	v_cndmask_b32_e32 v4, v4, v54, vcc
	v_lshrrev_b32_e32 v18, 23, v17
	v_add3_u32 v23, v10, v4, v18
	v_add_u32_e32 v10, 6, v23
	v_and_b32_e32 v4, 0xfffff, v27
	v_add_u32_e32 v17, v4, v17
	v_mov_b32_e32 v18, v41
	v_cmp_ne_u32_e32 vcc, 0, v10
                                        ; implicit-def: $vgpr4
	s_and_saveexec_b64 s[16:17], vcc
	s_xor_b64 s[16:17], exec, s[16:17]
; %bb.1060:                             ;   in Loop: Header=BB0_738 Depth=2
	v_cmp_lt_u64_e32 vcc, s[58:59], v[17:18]
	v_add_u32_e32 v4, 7, v23
	v_cndmask_b32_e32 v4, v10, v4, vcc
	v_cndmask_b32_e64 v10, 0, 1, vcc
	v_lshrrev_b64 v[17:18], v10, v[17:18]
; %bb.1061:                             ;   in Loop: Header=BB0_738 Depth=2
	s_andn2_saveexec_b64 s[16:17], s[16:17]
; %bb.1062:                             ;   in Loop: Header=BB0_738 Depth=2
	v_bfe_u32 v4, v17, 23, 1
; %bb.1063:                             ;   in Loop: Header=BB0_738 Depth=2
	s_or_b64 exec, exec, s[16:17]
	v_lshrrev_b64 v[17:18], 20, v[17:18]
	v_cmp_gt_i32_e32 vcc, 16, v4
	v_cndmask_b32_e32 v18, 0, v18, vcc
	v_cndmask_b32_e32 v17, 7, v17, vcc
	v_cmp_eq_u32_e32 vcc, 0, v4
	v_min_i32_e32 v4, 15, v4
	v_cmp_eq_u64_e64 s[16:17], 0, v[17:18]
	v_lshlrev_b32_e32 v4, 3, v4
	v_and_b32_e32 v4, 0xf8, v4
	v_and_or_b32 v4, v17, 7, v4
	s_and_b64 s[16:17], vcc, s[16:17]
	v_cndmask_b32_e64 v4, v4, 0, s[16:17]
	v_or_b32_e32 v4, v4, v0
.LBB0_1064:                             ;   in Loop: Header=BB0_738 Depth=2
	s_or_b64 exec, exec, s[74:75]
                                        ; implicit-def: $vgpr0
.LBB0_1065:                             ;   in Loop: Header=BB0_738 Depth=2
	s_andn2_saveexec_b64 s[16:17], s[72:73]
; %bb.1066:                             ;   in Loop: Header=BB0_738 Depth=2
	v_or_b32_e32 v4, 0x7e, v0
; %bb.1067:                             ;   in Loop: Header=BB0_738 Depth=2
	s_or_b64 exec, exec, s[16:17]
                                        ; implicit-def: $vgpr10
.LBB0_1068:                             ;   in Loop: Header=BB0_738 Depth=2
	s_andn2_saveexec_b64 s[16:17], s[62:63]
; %bb.1069:                             ;   in Loop: Header=BB0_738 Depth=2
	v_or_b32_sdwa v4, v10, s37 dst_sel:DWORD dst_unused:UNUSED_PAD src0_sel:BYTE_3 src1_sel:DWORD
; %bb.1070:                             ;   in Loop: Header=BB0_738 Depth=2
	s_or_b64 exec, exec, s[16:17]
	v_lshrrev_b16_e32 v0, 8, v19
	v_cmp_ne_u16_e32 vcc, 0, v0
	v_mov_b32_e32 v10, 0
	v_mov_b32_e32 v17, 0
	s_and_saveexec_b64 s[16:17], vcc
	s_cbranch_execz .LBB0_1076
; %bb.1071:                             ;   in Loop: Header=BB0_738 Depth=2
	v_cmp_ne_u16_e32 vcc, s36, v0
	v_bfrev_b32_e32 v17, 1
	s_and_saveexec_b64 s[62:63], vcc
	s_cbranch_execz .LBB0_1075
; %bb.1072:                             ;   in Loop: Header=BB0_738 Depth=2
	v_and_b32_e32 v18, 0x7f, v0
	v_cmp_ne_u32_e32 vcc, s37, v18
	v_mov_b32_e32 v17, 0x7f800001
	s_and_saveexec_b64 s[72:73], vcc
	s_cbranch_execz .LBB0_1074
; %bb.1073:                             ;   in Loop: Header=BB0_738 Depth=2
	v_and_b32_e32 v23, 7, v0
	v_ffbh_u32_e32 v17, v23
	v_min_u32_e32 v26, 32, v17
	v_subrev_u32_e32 v17, 28, v26
	v_lshrrev_b32_e32 v24, 3, v18
	v_cmp_gt_u32_e32 vcc, 8, v18
	v_lshlrev_b64 v[17:18], v17, v[0:1]
	v_sub_u32_e32 v0, 29, v26
	v_and_b32_e32 v17, 7, v17
	v_cndmask_b32_e32 v0, v24, v0, vcc
	v_cndmask_b32_e32 v17, v23, v17, vcc
	v_lshlrev_b32_e32 v18, 16, v19
	v_lshlrev_b32_e32 v17, 20, v17
	v_and_b32_e32 v18, 0x80000000, v18
	v_lshl_add_u32 v0, v0, 23, v7
	v_or3_b32 v17, v18, v0, v17
.LBB0_1074:                             ;   in Loop: Header=BB0_738 Depth=2
	s_or_b64 exec, exec, s[72:73]
.LBB0_1075:                             ;   in Loop: Header=BB0_738 Depth=2
	s_or_b64 exec, exec, s[62:63]
.LBB0_1076:                             ;   in Loop: Header=BB0_738 Depth=2
	s_or_b64 exec, exec, s[16:17]
	v_lshrrev_b16_e32 v0, 8, v20
	v_cmp_ne_u16_e32 vcc, 0, v0
	s_and_saveexec_b64 s[16:17], vcc
	s_cbranch_execz .LBB0_1082
; %bb.1077:                             ;   in Loop: Header=BB0_738 Depth=2
	v_cmp_ne_u16_e32 vcc, s36, v0
	v_bfrev_b32_e32 v10, 1
	s_and_saveexec_b64 s[62:63], vcc
	s_cbranch_execz .LBB0_1081
; %bb.1078:                             ;   in Loop: Header=BB0_738 Depth=2
	v_and_b32_e32 v18, 0x7f, v0
	v_cmp_ne_u32_e32 vcc, s37, v18
	v_mov_b32_e32 v10, 0x7f800001
	s_and_saveexec_b64 s[72:73], vcc
	s_cbranch_execz .LBB0_1080
; %bb.1079:                             ;   in Loop: Header=BB0_738 Depth=2
	v_and_b32_e32 v10, 7, v0
	v_lshrrev_b32_e32 v26, 3, v18
	v_cmp_gt_u32_e32 vcc, 8, v18
	v_ffbh_u32_e32 v18, v10
	v_min_u32_e32 v18, 32, v18
	v_subrev_u32_e32 v23, 28, v18
	v_lshlrev_b64 v[23:24], v23, v[0:1]
	v_sub_u32_e32 v0, 29, v18
	v_and_b32_e32 v18, 7, v23
	v_cndmask_b32_e32 v0, v26, v0, vcc
	v_cndmask_b32_e32 v10, v10, v18, vcc
	v_lshlrev_b32_e32 v18, 16, v20
	v_lshlrev_b32_e32 v10, 20, v10
	v_and_b32_e32 v18, 0x80000000, v18
	v_lshl_add_u32 v0, v0, 23, v7
	v_or3_b32 v10, v18, v0, v10
.LBB0_1080:                             ;   in Loop: Header=BB0_738 Depth=2
	s_or_b64 exec, exec, s[72:73]
.LBB0_1081:                             ;   in Loop: Header=BB0_738 Depth=2
	s_or_b64 exec, exec, s[62:63]
.LBB0_1082:                             ;   in Loop: Header=BB0_738 Depth=2
	s_or_b64 exec, exec, s[16:17]
	v_add_f32_e32 v17, v17, v10
	v_and_b32_e32 v23, 0x7f800000, v17
	v_mov_b32_e32 v24, v41
	v_cmp_ne_u64_e32 vcc, s[46:47], v[23:24]
                                        ; implicit-def: $vgpr10
	s_and_saveexec_b64 s[16:17], vcc
	s_xor_b64 s[62:63], exec, s[16:17]
	s_cbranch_execz .LBB0_1096
; %bb.1083:                             ;   in Loop: Header=BB0_738 Depth=2
	v_and_b32_e32 v23, 0x7fffffff, v17
	v_mov_b32_e32 v24, v41
	v_cmp_gt_u64_e32 vcc, s[56:57], v[23:24]
	v_and_b32_sdwa v0, v17, s36 dst_sel:DWORD dst_unused:UNUSED_PAD src0_sel:BYTE_3 src1_sel:DWORD
                                        ; implicit-def: $vgpr10
	s_and_saveexec_b64 s[16:17], vcc
	s_xor_b64 s[72:73], exec, s[16:17]
	s_cbranch_execz .LBB0_1093
; %bb.1084:                             ;   in Loop: Header=BB0_738 Depth=2
	v_mov_b32_e32 v10, 0
	v_cmp_ne_u32_e32 vcc, 0, v17
	s_and_saveexec_b64 s[74:75], vcc
	s_cbranch_execz .LBB0_1092
; %bb.1085:                             ;   in Loop: Header=BB0_738 Depth=2
	v_bfe_u32 v10, v17, 23, 8
	v_and_b32_e32 v18, 0x7fffff, v17
	v_cmp_gt_u32_e64 s[16:17], s38, v10
	v_sub_u32_e32 v17, 0x79, v10
	v_cmp_eq_u32_e32 vcc, 0, v10
	v_cndmask_b32_e64 v17, 0, v17, s[16:17]
	v_or_b32_e32 v23, 0x800000, v18
	v_cndmask_b32_e32 v20, v17, v8, vcc
	v_cndmask_b32_e32 v17, v23, v18, vcc
	v_add_u32_e32 v23, 20, v20
	v_lshlrev_b64 v[23:24], v23, -1
	v_mov_b32_e32 v18, v41
	v_add_u32_e32 v26, 19, v20
	v_bfi_b32 v23, v23, 0, v17
	v_lshlrev_b64 v[26:27], v26, 1
	v_lshrrev_b64 v[17:18], v20, v[17:18]
	v_bfi_b32 v24, v24, 0, 0
	v_cmp_eq_u64_e64 s[16:17], v[23:24], v[26:27]
	v_mov_b32_e32 v28, v18
	v_mov_b32_e32 v27, v17
	s_and_saveexec_b64 s[76:77], s[16:17]
; %bb.1086:                             ;   in Loop: Header=BB0_738 Depth=2
	v_bfe_u32 v18, v17, 20, 1
	v_add_co_u32_e64 v18, s[16:17], v17, v18
	v_add_co_u32_e64 v27, s[16:17], -1, v18
; %bb.1087:                             ;   in Loop: Header=BB0_738 Depth=2
	s_or_b64 exec, exec, s[76:77]
	v_add_u32_e32 v10, 0xffffff81, v10
	v_cndmask_b32_e32 v10, v10, v54, vcc
	v_lshrrev_b32_e32 v18, 23, v17
	v_add3_u32 v23, v20, v10, v18
	v_add_u32_e32 v20, 6, v23
	v_and_b32_e32 v10, 0xfffff, v27
	v_add_u32_e32 v17, v10, v17
	v_mov_b32_e32 v18, v41
	v_cmp_ne_u32_e32 vcc, 0, v20
                                        ; implicit-def: $vgpr10
	s_and_saveexec_b64 s[16:17], vcc
	s_xor_b64 s[16:17], exec, s[16:17]
; %bb.1088:                             ;   in Loop: Header=BB0_738 Depth=2
	v_cmp_lt_u64_e32 vcc, s[58:59], v[17:18]
	v_add_u32_e32 v10, 7, v23
	v_cndmask_b32_e32 v10, v20, v10, vcc
	v_cndmask_b32_e64 v20, 0, 1, vcc
	v_lshrrev_b64 v[17:18], v20, v[17:18]
; %bb.1089:                             ;   in Loop: Header=BB0_738 Depth=2
	s_andn2_saveexec_b64 s[16:17], s[16:17]
; %bb.1090:                             ;   in Loop: Header=BB0_738 Depth=2
	v_bfe_u32 v10, v17, 23, 1
; %bb.1091:                             ;   in Loop: Header=BB0_738 Depth=2
	s_or_b64 exec, exec, s[16:17]
	v_lshrrev_b64 v[17:18], 20, v[17:18]
	v_cmp_gt_i32_e32 vcc, 16, v10
	v_cndmask_b32_e32 v18, 0, v18, vcc
	v_cndmask_b32_e32 v17, 7, v17, vcc
	v_cmp_eq_u32_e32 vcc, 0, v10
	v_min_i32_e32 v10, 15, v10
	v_cmp_eq_u64_e64 s[16:17], 0, v[17:18]
	v_lshlrev_b32_e32 v10, 3, v10
	v_and_b32_e32 v10, 0xf8, v10
	v_and_or_b32 v10, v17, 7, v10
	s_and_b64 s[16:17], vcc, s[16:17]
	v_cndmask_b32_e64 v10, v10, 0, s[16:17]
	v_or_b32_e32 v10, v10, v0
.LBB0_1092:                             ;   in Loop: Header=BB0_738 Depth=2
	s_or_b64 exec, exec, s[74:75]
                                        ; implicit-def: $vgpr0
.LBB0_1093:                             ;   in Loop: Header=BB0_738 Depth=2
	s_andn2_saveexec_b64 s[16:17], s[72:73]
; %bb.1094:                             ;   in Loop: Header=BB0_738 Depth=2
	v_or_b32_e32 v10, 0x7e, v0
; %bb.1095:                             ;   in Loop: Header=BB0_738 Depth=2
	s_or_b64 exec, exec, s[16:17]
                                        ; implicit-def: $vgpr17
.LBB0_1096:                             ;   in Loop: Header=BB0_738 Depth=2
	s_andn2_saveexec_b64 s[16:17], s[62:63]
; %bb.1097:                             ;   in Loop: Header=BB0_738 Depth=2
	v_or_b32_sdwa v10, v17, s37 dst_sel:DWORD dst_unused:UNUSED_PAD src0_sel:BYTE_3 src1_sel:DWORD
; %bb.1098:                             ;   in Loop: Header=BB0_738 Depth=2
	s_or_b64 exec, exec, s[16:17]
	v_lshrrev_b32_e32 v0, 16, v19
	v_cmp_ne_u16_sdwa s[62:63], v0, v41 src0_sel:BYTE_0 src1_sel:DWORD
	v_mov_b32_e32 v17, 0
	v_mov_b32_e32 v18, 0
	s_and_saveexec_b64 s[16:17], s[62:63]
	s_cbranch_execz .LBB0_1104
; %bb.1099:                             ;   in Loop: Header=BB0_738 Depth=2
	v_cmp_ne_u16_sdwa s[72:73], v0, s36 src0_sel:BYTE_0 src1_sel:DWORD
	v_bfrev_b32_e32 v18, 1
	s_and_saveexec_b64 s[62:63], s[72:73]
	s_cbranch_execz .LBB0_1103
; %bb.1100:                             ;   in Loop: Header=BB0_738 Depth=2
	v_bfe_u32 v20, v19, 16, 7
	v_cmp_ne_u32_e32 vcc, s37, v20
	v_mov_b32_e32 v18, 0x7f800001
	s_and_saveexec_b64 s[72:73], vcc
	s_cbranch_execz .LBB0_1102
; %bb.1101:                             ;   in Loop: Header=BB0_738 Depth=2
	v_and_b32_e32 v18, 7, v0
	v_lshrrev_b32_e32 v26, 3, v20
	v_cmp_gt_u32_e32 vcc, 8, v20
	v_ffbh_u32_e32 v20, v18
	v_min_u32_e32 v20, 32, v20
	v_subrev_u32_e32 v23, 28, v20
	v_lshlrev_b64 v[23:24], v23, v[0:1]
	v_sub_u32_e32 v20, 29, v20
	v_and_b32_e32 v23, 7, v23
	v_cndmask_b32_e32 v20, v26, v20, vcc
	v_cndmask_b32_e32 v18, v18, v23, vcc
	v_lshlrev_b32_e32 v0, 24, v0
	v_lshlrev_b32_e32 v18, 20, v18
	v_and_b32_e32 v0, 0x80000000, v0
	v_lshl_add_u32 v20, v20, 23, v7
	v_or3_b32 v18, v0, v20, v18
.LBB0_1102:                             ;   in Loop: Header=BB0_738 Depth=2
	s_or_b64 exec, exec, s[72:73]
.LBB0_1103:                             ;   in Loop: Header=BB0_738 Depth=2
	s_or_b64 exec, exec, s[62:63]
.LBB0_1104:                             ;   in Loop: Header=BB0_738 Depth=2
	s_or_b64 exec, exec, s[16:17]
	v_lshrrev_b32_e32 v0, 16, v40
	v_cmp_ne_u16_sdwa s[62:63], v0, v41 src0_sel:BYTE_0 src1_sel:DWORD
	s_and_saveexec_b64 s[16:17], s[62:63]
	s_cbranch_execz .LBB0_1110
; %bb.1105:                             ;   in Loop: Header=BB0_738 Depth=2
	v_cmp_ne_u16_sdwa s[72:73], v0, s36 src0_sel:BYTE_0 src1_sel:DWORD
	v_bfrev_b32_e32 v17, 1
	s_and_saveexec_b64 s[62:63], s[72:73]
	s_cbranch_execz .LBB0_1109
; %bb.1106:                             ;   in Loop: Header=BB0_738 Depth=2
	v_bfe_u32 v20, v40, 16, 7
	v_cmp_ne_u32_e32 vcc, s37, v20
	v_mov_b32_e32 v17, 0x7f800001
	s_and_saveexec_b64 s[72:73], vcc
	s_cbranch_execz .LBB0_1108
; %bb.1107:                             ;   in Loop: Header=BB0_738 Depth=2
	v_and_b32_e32 v17, 7, v0
	v_lshrrev_b32_e32 v26, 3, v20
	v_cmp_gt_u32_e32 vcc, 8, v20
	v_ffbh_u32_e32 v20, v17
	v_min_u32_e32 v20, 32, v20
	v_subrev_u32_e32 v23, 28, v20
	v_lshlrev_b64 v[23:24], v23, v[0:1]
	v_sub_u32_e32 v0, 29, v20
	v_and_b32_e32 v20, 7, v23
	v_cndmask_b32_e32 v0, v26, v0, vcc
	v_cndmask_b32_e32 v17, v17, v20, vcc
	v_lshlrev_b32_e32 v20, 8, v40
	v_lshlrev_b32_e32 v17, 20, v17
	v_and_b32_e32 v20, 0x80000000, v20
	v_lshl_add_u32 v0, v0, 23, v7
	v_or3_b32 v17, v20, v0, v17
.LBB0_1108:                             ;   in Loop: Header=BB0_738 Depth=2
	s_or_b64 exec, exec, s[72:73]
.LBB0_1109:                             ;   in Loop: Header=BB0_738 Depth=2
	s_or_b64 exec, exec, s[62:63]
.LBB0_1110:                             ;   in Loop: Header=BB0_738 Depth=2
	s_or_b64 exec, exec, s[16:17]
	v_add_f32_e32 v17, v18, v17
	v_and_b32_e32 v23, 0x7f800000, v17
	v_mov_b32_e32 v24, v41
	v_cmp_ne_u64_e32 vcc, s[46:47], v[23:24]
                                        ; implicit-def: $vgpr20
	s_and_saveexec_b64 s[16:17], vcc
	s_xor_b64 s[62:63], exec, s[16:17]
	s_cbranch_execz .LBB0_1124
; %bb.1111:                             ;   in Loop: Header=BB0_738 Depth=2
	v_and_b32_e32 v23, 0x7fffffff, v17
	v_mov_b32_e32 v24, v41
	v_cmp_gt_u64_e32 vcc, s[56:57], v[23:24]
	v_and_b32_sdwa v0, v17, s36 dst_sel:DWORD dst_unused:UNUSED_PAD src0_sel:BYTE_3 src1_sel:DWORD
                                        ; implicit-def: $vgpr20
	s_and_saveexec_b64 s[16:17], vcc
	s_xor_b64 s[72:73], exec, s[16:17]
	s_cbranch_execz .LBB0_1121
; %bb.1112:                             ;   in Loop: Header=BB0_738 Depth=2
	v_mov_b32_e32 v20, 0
	v_cmp_ne_u32_e32 vcc, 0, v17
	s_and_saveexec_b64 s[74:75], vcc
	s_cbranch_execz .LBB0_1120
; %bb.1113:                             ;   in Loop: Header=BB0_738 Depth=2
	v_bfe_u32 v20, v17, 23, 8
	v_and_b32_e32 v18, 0x7fffff, v17
	v_cmp_gt_u32_e64 s[16:17], s38, v20
	v_sub_u32_e32 v17, 0x79, v20
	v_cmp_eq_u32_e32 vcc, 0, v20
	v_cndmask_b32_e64 v17, 0, v17, s[16:17]
	v_or_b32_e32 v23, 0x800000, v18
	v_cndmask_b32_e32 v26, v17, v8, vcc
	v_cndmask_b32_e32 v17, v23, v18, vcc
	v_add_u32_e32 v23, 20, v26
	v_lshlrev_b64 v[23:24], v23, -1
	v_mov_b32_e32 v18, v41
	v_add_u32_e32 v27, 19, v26
	v_bfi_b32 v23, v23, 0, v17
	v_lshlrev_b64 v[27:28], v27, 1
	v_lshrrev_b64 v[17:18], v26, v[17:18]
	v_bfi_b32 v24, v24, 0, 0
	v_cmp_eq_u64_e64 s[16:17], v[23:24], v[27:28]
	v_mov_b32_e32 v28, v18
	v_mov_b32_e32 v27, v17
	s_and_saveexec_b64 s[76:77], s[16:17]
; %bb.1114:                             ;   in Loop: Header=BB0_738 Depth=2
	v_bfe_u32 v18, v17, 20, 1
	v_add_co_u32_e64 v18, s[16:17], v17, v18
	v_add_co_u32_e64 v27, s[16:17], -1, v18
; %bb.1115:                             ;   in Loop: Header=BB0_738 Depth=2
	s_or_b64 exec, exec, s[76:77]
	v_add_u32_e32 v18, 0xffffff81, v20
	v_cndmask_b32_e32 v18, v18, v54, vcc
	v_lshrrev_b32_e32 v20, 23, v17
	v_add3_u32 v24, v26, v18, v20
	v_add_u32_e32 v23, 6, v24
	v_and_b32_e32 v18, 0xfffff, v27
	v_add_u32_e32 v17, v18, v17
	v_mov_b32_e32 v18, v41
	v_cmp_ne_u32_e32 vcc, 0, v23
                                        ; implicit-def: $vgpr20
	s_and_saveexec_b64 s[16:17], vcc
	s_xor_b64 s[16:17], exec, s[16:17]
; %bb.1116:                             ;   in Loop: Header=BB0_738 Depth=2
	v_cmp_lt_u64_e32 vcc, s[58:59], v[17:18]
	v_add_u32_e32 v20, 7, v24
	v_cndmask_b32_e32 v20, v23, v20, vcc
	v_cndmask_b32_e64 v23, 0, 1, vcc
	v_lshrrev_b64 v[17:18], v23, v[17:18]
; %bb.1117:                             ;   in Loop: Header=BB0_738 Depth=2
	s_andn2_saveexec_b64 s[16:17], s[16:17]
; %bb.1118:                             ;   in Loop: Header=BB0_738 Depth=2
	v_bfe_u32 v20, v17, 23, 1
; %bb.1119:                             ;   in Loop: Header=BB0_738 Depth=2
	s_or_b64 exec, exec, s[16:17]
	v_lshrrev_b64 v[17:18], 20, v[17:18]
	v_cmp_gt_i32_e32 vcc, 16, v20
	v_cndmask_b32_e32 v18, 0, v18, vcc
	v_cndmask_b32_e32 v17, 7, v17, vcc
	v_cmp_eq_u64_e64 s[16:17], 0, v[17:18]
	v_min_i32_e32 v18, 15, v20
	v_lshlrev_b32_e32 v18, 3, v18
	v_cmp_eq_u32_e32 vcc, 0, v20
	v_and_b32_e32 v18, 0xf8, v18
	v_and_or_b32 v17, v17, 7, v18
	s_and_b64 s[16:17], vcc, s[16:17]
	v_cndmask_b32_e64 v17, v17, 0, s[16:17]
	v_or_b32_e32 v20, v17, v0
.LBB0_1120:                             ;   in Loop: Header=BB0_738 Depth=2
	s_or_b64 exec, exec, s[74:75]
                                        ; implicit-def: $vgpr0
.LBB0_1121:                             ;   in Loop: Header=BB0_738 Depth=2
	s_andn2_saveexec_b64 s[16:17], s[72:73]
; %bb.1122:                             ;   in Loop: Header=BB0_738 Depth=2
	v_or_b32_e32 v20, 0x7e, v0
; %bb.1123:                             ;   in Loop: Header=BB0_738 Depth=2
	s_or_b64 exec, exec, s[16:17]
                                        ; implicit-def: $vgpr17
.LBB0_1124:                             ;   in Loop: Header=BB0_738 Depth=2
	s_andn2_saveexec_b64 s[16:17], s[62:63]
; %bb.1125:                             ;   in Loop: Header=BB0_738 Depth=2
	v_or_b32_sdwa v20, v17, s37 dst_sel:DWORD dst_unused:UNUSED_PAD src0_sel:BYTE_3 src1_sel:DWORD
; %bb.1126:                             ;   in Loop: Header=BB0_738 Depth=2
	s_or_b64 exec, exec, s[16:17]
	v_and_b32_e32 v17, 0xff000000, v19
	v_mov_b32_e32 v18, v41
	v_cmp_ne_u64_e32 vcc, 0, v[17:18]
	v_mov_b32_e32 v17, 0
	v_mov_b32_e32 v18, 0
	s_and_saveexec_b64 s[16:17], vcc
	s_cbranch_execz .LBB0_1132
; %bb.1127:                             ;   in Loop: Header=BB0_738 Depth=2
	v_lshrrev_b32_e32 v0, 24, v19
	v_cmp_ne_u32_e32 vcc, s36, v0
	v_bfrev_b32_e32 v18, 1
	s_and_saveexec_b64 s[62:63], vcc
	s_cbranch_execz .LBB0_1131
; %bb.1128:                             ;   in Loop: Header=BB0_738 Depth=2
	v_bfe_u32 v19, v19, 24, 7
	v_cmp_ne_u32_e32 vcc, s37, v19
	v_mov_b32_e32 v18, 0x7f800001
	s_and_saveexec_b64 s[72:73], vcc
	s_cbranch_execz .LBB0_1130
; %bb.1129:                             ;   in Loop: Header=BB0_738 Depth=2
	v_and_b32_e32 v23, 7, v0
	v_ffbh_u32_e32 v18, v23
	v_min_u32_e32 v26, 32, v18
	v_subrev_u32_e32 v18, 28, v26
	v_lshrrev_b32_e32 v24, 3, v19
	v_cmp_gt_u32_e32 vcc, 8, v19
	v_lshlrev_b64 v[18:19], v18, v[0:1]
	v_sub_u32_e32 v19, 29, v26
	v_and_b32_e32 v18, 7, v18
	v_cndmask_b32_e32 v19, v24, v19, vcc
	v_cndmask_b32_e32 v18, v23, v18, vcc
	v_lshlrev_b32_e32 v0, 24, v0
	v_lshlrev_b32_e32 v18, 20, v18
	v_and_b32_e32 v0, 0x80000000, v0
	v_lshl_add_u32 v19, v19, 23, v7
	v_or3_b32 v18, v0, v19, v18
.LBB0_1130:                             ;   in Loop: Header=BB0_738 Depth=2
	s_or_b64 exec, exec, s[72:73]
.LBB0_1131:                             ;   in Loop: Header=BB0_738 Depth=2
	s_or_b64 exec, exec, s[62:63]
.LBB0_1132:                             ;   in Loop: Header=BB0_738 Depth=2
	s_or_b64 exec, exec, s[16:17]
	v_cmp_lt_u32_e32 vcc, s39, v40
	s_and_saveexec_b64 s[16:17], vcc
	s_cbranch_execz .LBB0_1138
; %bb.1133:                             ;   in Loop: Header=BB0_738 Depth=2
	v_lshrrev_b32_e32 v0, 24, v40
	v_cmp_ne_u32_sdwa s[72:73], v40, s36 src0_sel:BYTE_3 src1_sel:DWORD
	v_bfrev_b32_e32 v17, 1
	s_and_saveexec_b64 s[62:63], s[72:73]
	s_cbranch_execz .LBB0_1137
; %bb.1134:                             ;   in Loop: Header=BB0_738 Depth=2
	v_bfe_u32 v19, v40, 24, 7
	v_cmp_ne_u32_e32 vcc, s37, v19
	v_mov_b32_e32 v17, 0x7f800001
	s_and_saveexec_b64 s[72:73], vcc
	s_cbranch_execz .LBB0_1136
; %bb.1135:                             ;   in Loop: Header=BB0_738 Depth=2
	v_and_b32_e32 v17, 7, v0
	v_lshrrev_b32_e32 v26, 3, v19
	v_cmp_gt_u32_e32 vcc, 8, v19
	v_ffbh_u32_e32 v19, v17
	v_min_u32_e32 v19, 32, v19
	v_subrev_u32_e32 v23, 28, v19
	v_lshlrev_b64 v[23:24], v23, v[0:1]
	v_sub_u32_e32 v0, 29, v19
	v_and_b32_e32 v19, 7, v23
	v_cndmask_b32_e32 v0, v26, v0, vcc
	v_cndmask_b32_e32 v17, v17, v19, vcc
	v_lshlrev_b32_sdwa v19, v55, v40 dst_sel:DWORD dst_unused:UNUSED_PAD src0_sel:DWORD src1_sel:BYTE_3
	v_lshlrev_b32_e32 v17, 20, v17
	v_and_b32_e32 v19, 0x80000000, v19
	v_lshl_add_u32 v0, v0, 23, v7
	v_or3_b32 v17, v19, v0, v17
.LBB0_1136:                             ;   in Loop: Header=BB0_738 Depth=2
	s_or_b64 exec, exec, s[72:73]
.LBB0_1137:                             ;   in Loop: Header=BB0_738 Depth=2
	s_or_b64 exec, exec, s[62:63]
.LBB0_1138:                             ;   in Loop: Header=BB0_738 Depth=2
	s_or_b64 exec, exec, s[16:17]
	v_add_f32_e32 v17, v18, v17
	v_and_b32_e32 v40, 0x7f800000, v17
	v_cmp_ne_u64_e32 vcc, s[46:47], v[40:41]
                                        ; implicit-def: $vgpr18
	s_and_saveexec_b64 s[16:17], vcc
	s_xor_b64 s[62:63], exec, s[16:17]
	s_cbranch_execz .LBB0_1152
; %bb.1139:                             ;   in Loop: Header=BB0_738 Depth=2
	v_and_b32_e32 v40, 0x7fffffff, v17
	v_cmp_gt_u64_e32 vcc, s[56:57], v[40:41]
	v_and_b32_sdwa v0, v17, s36 dst_sel:DWORD dst_unused:UNUSED_PAD src0_sel:BYTE_3 src1_sel:DWORD
                                        ; implicit-def: $vgpr18
	s_and_saveexec_b64 s[16:17], vcc
	s_xor_b64 s[72:73], exec, s[16:17]
	s_cbranch_execz .LBB0_1149
; %bb.1140:                             ;   in Loop: Header=BB0_738 Depth=2
	v_mov_b32_e32 v18, 0
	v_cmp_ne_u32_e32 vcc, 0, v17
	s_and_saveexec_b64 s[74:75], vcc
	s_cbranch_execz .LBB0_1148
; %bb.1141:                             ;   in Loop: Header=BB0_738 Depth=2
	v_bfe_u32 v26, v17, 23, 8
	v_and_b32_e32 v18, 0x7fffff, v17
	v_cmp_gt_u32_e64 s[16:17], s38, v26
	v_sub_u32_e32 v17, 0x79, v26
	v_cmp_eq_u32_e32 vcc, 0, v26
	v_cndmask_b32_e64 v17, 0, v17, s[16:17]
	v_cndmask_b32_e32 v27, v17, v8, vcc
	v_or_b32_e32 v19, 0x800000, v18
	v_add_u32_e32 v17, 20, v27
	v_cndmask_b32_e32 v40, v19, v18, vcc
	v_lshlrev_b64 v[17:18], v17, -1
	v_add_u32_e32 v19, 19, v27
	v_lshlrev_b64 v[23:24], v19, 1
	v_bfi_b32 v18, v18, 0, 0
	v_bfi_b32 v17, v17, 0, v40
	v_cmp_eq_u64_e64 s[16:17], v[17:18], v[23:24]
	v_lshrrev_b64 v[17:18], v27, v[40:41]
	v_mov_b32_e32 v19, v18
	v_mov_b32_e32 v18, v17
	s_and_saveexec_b64 s[76:77], s[16:17]
; %bb.1142:                             ;   in Loop: Header=BB0_738 Depth=2
	v_bfe_u32 v18, v17, 20, 1
	v_add_co_u32_e64 v18, s[16:17], v17, v18
	v_add_co_u32_e64 v18, s[16:17], -1, v18
; %bb.1143:                             ;   in Loop: Header=BB0_738 Depth=2
	s_or_b64 exec, exec, s[76:77]
	v_add_u32_e32 v19, 0xffffff81, v26
	v_cndmask_b32_e32 v19, v19, v54, vcc
	v_lshrrev_b32_e32 v23, 23, v17
	v_add3_u32 v24, v27, v19, v23
	v_add_u32_e32 v23, 6, v24
	v_and_b32_e32 v18, 0xfffff, v18
	v_add_u32_e32 v40, v18, v17
	v_cmp_ne_u32_e32 vcc, 0, v23
                                        ; implicit-def: $vgpr17_vgpr18
                                        ; implicit-def: $vgpr19
	s_and_saveexec_b64 s[16:17], vcc
	s_xor_b64 s[16:17], exec, s[16:17]
; %bb.1144:                             ;   in Loop: Header=BB0_738 Depth=2
	v_cmp_lt_u64_e32 vcc, s[58:59], v[40:41]
	v_add_u32_e32 v17, 7, v24
	v_cndmask_b32_e32 v19, v23, v17, vcc
	v_cndmask_b32_e64 v17, 0, 1, vcc
	v_lshrrev_b64 v[17:18], v17, v[40:41]
; %bb.1145:                             ;   in Loop: Header=BB0_738 Depth=2
	s_andn2_saveexec_b64 s[16:17], s[16:17]
; %bb.1146:                             ;   in Loop: Header=BB0_738 Depth=2
	v_mov_b32_e32 v17, v40
	v_bfe_u32 v19, v40, 23, 1
	v_mov_b32_e32 v18, v41
; %bb.1147:                             ;   in Loop: Header=BB0_738 Depth=2
	s_or_b64 exec, exec, s[16:17]
	v_lshrrev_b64 v[17:18], 20, v[17:18]
	v_cmp_gt_i32_e32 vcc, 16, v19
	v_cndmask_b32_e32 v18, 0, v18, vcc
	v_cndmask_b32_e32 v17, 7, v17, vcc
	v_cmp_eq_u64_e64 s[16:17], 0, v[17:18]
	v_min_i32_e32 v18, 15, v19
	v_lshlrev_b32_e32 v18, 3, v18
	v_cmp_eq_u32_e32 vcc, 0, v19
	v_and_b32_e32 v18, 0xf8, v18
	v_and_or_b32 v17, v17, 7, v18
	s_and_b64 s[16:17], vcc, s[16:17]
	v_cndmask_b32_e64 v17, v17, 0, s[16:17]
	v_or_b32_e32 v18, v17, v0
.LBB0_1148:                             ;   in Loop: Header=BB0_738 Depth=2
	s_or_b64 exec, exec, s[74:75]
                                        ; implicit-def: $vgpr0
.LBB0_1149:                             ;   in Loop: Header=BB0_738 Depth=2
	s_andn2_saveexec_b64 s[16:17], s[72:73]
; %bb.1150:                             ;   in Loop: Header=BB0_738 Depth=2
	v_or_b32_e32 v18, 0x7e, v0
; %bb.1151:                             ;   in Loop: Header=BB0_738 Depth=2
	s_or_b64 exec, exec, s[16:17]
                                        ; implicit-def: $vgpr17
.LBB0_1152:                             ;   in Loop: Header=BB0_738 Depth=2
	s_andn2_saveexec_b64 s[16:17], s[62:63]
; %bb.1153:                             ;   in Loop: Header=BB0_738 Depth=2
	v_or_b32_sdwa v18, v17, s37 dst_sel:DWORD dst_unused:UNUSED_PAD src0_sel:BYTE_3 src1_sel:DWORD
; %bb.1154:                             ;   in Loop: Header=BB0_738 Depth=2
	s_or_b64 exec, exec, s[16:17]
	v_lshlrev_b32_e32 v0, 16, v29
	v_lshlrev_b32_e32 v17, 24, v31
	v_lshl_or_b32 v0, v11, 8, v0
	v_lshlrev_b32_e32 v11, 16, v20
	v_or3_b32 v17, v0, v17, v9
	v_lshlrev_b32_e32 v0, 24, v18
	v_lshl_or_b32 v10, v10, 8, v11
	v_cmp_lt_u32_e32 vcc, 7, v48
	v_or3_b32 v18, v10, v0, v4
	s_cmp_lg_u64 vcc, exec
	s_mov_b64 s[16:17], -1
	s_cbranch_scc0 .LBB0_1164
; %bb.1155:                             ;   in Loop: Header=BB0_738 Depth=2
	v_cmp_ne_u32_e64 s[16:17], 1, v48
	flat_store_byte v[46:47], v9
	s_and_saveexec_b64 s[62:63], s[16:17]
	s_cbranch_execnz .LBB0_1166
; %bb.1156:                             ;   in Loop: Header=BB0_738 Depth=2
	s_or_b64 exec, exec, s[62:63]
	v_cmp_lt_u32_e64 s[16:17], 2, v48
	s_and_saveexec_b64 s[62:63], s[16:17]
	s_cbranch_execnz .LBB0_1167
.LBB0_1157:                             ;   in Loop: Header=BB0_738 Depth=2
	s_or_b64 exec, exec, s[62:63]
	v_cmp_lt_u32_e64 s[16:17], 3, v48
	s_and_saveexec_b64 s[62:63], s[16:17]
	s_cbranch_execnz .LBB0_1168
.LBB0_1158:                             ;   in Loop: Header=BB0_738 Depth=2
	s_or_b64 exec, exec, s[62:63]
	v_cmp_lt_u32_e64 s[16:17], 4, v48
	s_and_saveexec_b64 s[62:63], s[16:17]
	s_cbranch_execnz .LBB0_1169
.LBB0_1159:                             ;   in Loop: Header=BB0_738 Depth=2
	s_or_b64 exec, exec, s[62:63]
	v_cmp_lt_u32_e64 s[16:17], 5, v48
	s_and_saveexec_b64 s[62:63], s[16:17]
	s_cbranch_execnz .LBB0_1170
.LBB0_1160:                             ;   in Loop: Header=BB0_738 Depth=2
	s_or_b64 exec, exec, s[62:63]
	v_cmp_lt_u32_e64 s[16:17], 6, v48
	s_and_saveexec_b64 s[62:63], s[16:17]
	s_cbranch_execnz .LBB0_1171
.LBB0_1161:                             ;   in Loop: Header=BB0_738 Depth=2
	s_or_b64 exec, exec, s[62:63]
	s_and_saveexec_b64 s[16:17], vcc
	s_cbranch_execz .LBB0_1163
.LBB0_1162:                             ;   in Loop: Header=BB0_738 Depth=2
	v_lshrrev_b32_e32 v0, 24, v18
	flat_store_byte v[46:47], v0 offset:7
.LBB0_1163:                             ;   in Loop: Header=BB0_738 Depth=2
	s_or_b64 exec, exec, s[16:17]
	s_mov_b64 s[16:17], 0
.LBB0_1164:                             ;   in Loop: Header=BB0_738 Depth=2
	s_and_b64 vcc, exec, s[16:17]
	s_cbranch_vccz .LBB0_737
; %bb.1165:                             ;   in Loop: Header=BB0_738 Depth=2
	global_store_dwordx2 v[46:47], v[17:18], off
	s_branch .LBB0_737
.LBB0_1166:                             ;   in Loop: Header=BB0_738 Depth=2
	v_lshrrev_b32_e32 v0, 8, v17
	flat_store_byte v[46:47], v0 offset:1
	s_or_b64 exec, exec, s[62:63]
	v_cmp_lt_u32_e64 s[16:17], 2, v48
	s_and_saveexec_b64 s[62:63], s[16:17]
	s_cbranch_execz .LBB0_1157
.LBB0_1167:                             ;   in Loop: Header=BB0_738 Depth=2
	flat_store_byte_d16_hi v[46:47], v17 offset:2
	s_or_b64 exec, exec, s[62:63]
	v_cmp_lt_u32_e64 s[16:17], 3, v48
	s_and_saveexec_b64 s[62:63], s[16:17]
	s_cbranch_execz .LBB0_1158
.LBB0_1168:                             ;   in Loop: Header=BB0_738 Depth=2
	v_lshrrev_b32_e32 v0, 24, v17
	flat_store_byte v[46:47], v0 offset:3
	s_or_b64 exec, exec, s[62:63]
	v_cmp_lt_u32_e64 s[16:17], 4, v48
	s_and_saveexec_b64 s[62:63], s[16:17]
	s_cbranch_execz .LBB0_1159
.LBB0_1169:                             ;   in Loop: Header=BB0_738 Depth=2
	flat_store_byte v[46:47], v4 offset:4
	s_or_b64 exec, exec, s[62:63]
	v_cmp_lt_u32_e64 s[16:17], 5, v48
	s_and_saveexec_b64 s[62:63], s[16:17]
	s_cbranch_execz .LBB0_1160
.LBB0_1170:                             ;   in Loop: Header=BB0_738 Depth=2
	v_lshrrev_b32_e32 v0, 8, v18
	flat_store_byte v[46:47], v0 offset:5
	s_or_b64 exec, exec, s[62:63]
	v_cmp_lt_u32_e64 s[16:17], 6, v48
	s_and_saveexec_b64 s[62:63], s[16:17]
	s_cbranch_execz .LBB0_1161
.LBB0_1171:                             ;   in Loop: Header=BB0_738 Depth=2
	flat_store_byte_d16_hi v[46:47], v18 offset:6
	s_or_b64 exec, exec, s[62:63]
	s_and_saveexec_b64 s[16:17], vcc
	s_cbranch_execnz .LBB0_1162
	s_branch .LBB0_1163
.LBB0_1172:                             ;   in Loop: Header=BB0_30 Depth=1
	s_or_b64 exec, exec, s[60:61]
.LBB0_1173:                             ;   in Loop: Header=BB0_30 Depth=1
	s_or_b64 exec, exec, s[18:19]
	buffer_load_dword v17, off, s[0:3], s32 offset:148 ; 4-byte Folded Reload
	buffer_load_dword v18, off, s[0:3], s32 offset:152 ; 4-byte Folded Reload
	;; [unrolled: 1-line block ×8, first 2 shown]
	s_waitcnt vmcnt(0)
	v_mov_b32_e32 v27, v20
	v_mov_b32_e32 v26, v19
	s_and_saveexec_b64 s[16:17], s[10:11]
	s_cbranch_execz .LBB0_1192
; %bb.1174:                             ;   in Loop: Header=BB0_30 Depth=1
	s_and_saveexec_b64 s[18:19], s[40:41]
	s_xor_b64 s[18:19], exec, s[18:19]
	s_cbranch_execz .LBB0_1189
; %bb.1175:                             ;   in Loop: Header=BB0_30 Depth=1
	s_and_saveexec_b64 s[60:61], s[12:13]
	s_cbranch_execz .LBB0_1188
; %bb.1176:                             ;   in Loop: Header=BB0_30 Depth=1
	s_mov_b64 s[72:73], exec
	s_waitcnt lgkmcnt(0)
	v_mbcnt_lo_u32_b32 v0, s72, 0
	v_mbcnt_hi_u32_b32 v0, s73, v0
	v_cmp_eq_u32_e32 vcc, 0, v0
	buffer_wbinvl1_vol
	s_and_saveexec_b64 s[62:63], vcc
	s_cbranch_execz .LBB0_1178
; %bb.1177:                             ;   in Loop: Header=BB0_30 Depth=1
	s_bcnt1_i32_b64 s26, s[72:73]
	v_mov_b32_e32 v40, s26
	ds_add_u64 v0, v[40:41]
	s_trap 2
.LBB0_1178:                             ;   in Loop: Header=BB0_30 Depth=1
	s_or_b64 exec, exec, s[62:63]
	s_trap 2
	ds_read_b64 v[9:10], v0
	s_waitcnt lgkmcnt(0)
	buffer_load_dword v0, off, s[0:3], s32 offset:116 ; 4-byte Folded Reload
	s_waitcnt vmcnt(0)
	v_add_co_u32_e32 v2, vcc, v2, v0
	v_addc_co_u32_e32 v3, vcc, 0, v3, vcc
	v_cmp_lt_u64_e32 vcc, v[9:10], v[2:3]
	s_and_saveexec_b64 s[62:63], vcc
	s_cbranch_execz .LBB0_1187
; %bb.1179:                             ;   in Loop: Header=BB0_30 Depth=1
	s_mov_b32 s26, 0
	s_mov_b64 s[72:73], 0
                                        ; implicit-def: $sgpr74_sgpr75
                                        ; implicit-def: $sgpr76_sgpr77
	s_branch .LBB0_1181
.LBB0_1180:                             ;   in Loop: Header=BB0_1181 Depth=2
	s_or_b64 exec, exec, s[88:89]
	s_and_b64 s[78:79], exec, s[90:91]
	s_or_b64 s[72:73], s[78:79], s[72:73]
	s_andn2_b64 s[74:75], s[74:75], exec
	s_and_b64 s[78:79], s[76:77], exec
	s_or_b64 s[74:75], s[74:75], s[78:79]
	s_andn2_b64 exec, exec, s[72:73]
	s_cbranch_execz .LBB0_1185
.LBB0_1181:                             ;   Parent Loop BB0_30 Depth=1
                                        ; =>  This Inner Loop Header: Depth=2
	s_add_i32 s26, s26, 1
	s_cmpk_lg_i32 s26, 0x2710
	s_cselect_b64 s[78:79], -1, 0
	s_and_b64 vcc, exec, s[78:79]
	s_cbranch_vccz .LBB0_1183
; %bb.1182:                             ;   in Loop: Header=BB0_1181 Depth=2
	s_mov_b64 s[90:91], -1
	s_or_b64 s[76:77], s[76:77], exec
	s_and_saveexec_b64 s[88:89], s[78:79]
	s_cbranch_execz .LBB0_1180
	s_branch .LBB0_1184
.LBB0_1183:                             ;   in Loop: Header=BB0_1181 Depth=2
	s_trap 2
	ds_read_b64 v[9:10], v0
	s_andn2_b64 s[78:79], s[78:79], exec
	s_mov_b32 s26, 0
	s_waitcnt lgkmcnt(0)
	flat_load_dword v0, v[9:10] glc
	s_waitcnt vmcnt(0) lgkmcnt(0)
	buffer_wbinvl1_vol
	v_cmp_eq_u32_e32 vcc, 0, v0
	s_and_b64 s[88:89], vcc, exec
	s_or_b64 s[78:79], s[78:79], s[88:89]
	s_mov_b64 s[90:91], -1
	s_or_b64 s[76:77], s[76:77], exec
	s_and_saveexec_b64 s[88:89], s[78:79]
	s_cbranch_execz .LBB0_1180
.LBB0_1184:                             ;   in Loop: Header=BB0_1181 Depth=2
	s_sleep 1
	s_trap 2
	ds_read_b64 v[9:10], v0
	s_waitcnt lgkmcnt(0)
	s_andn2_b64 s[76:77], s[76:77], exec
	v_cmp_ge_u64_e32 vcc, v[9:10], v[2:3]
	s_orn2_b64 s[90:91], vcc, exec
	s_branch .LBB0_1180
.LBB0_1185:                             ;   in Loop: Header=BB0_30 Depth=1
	s_or_b64 exec, exec, s[72:73]
	s_and_saveexec_b64 s[72:73], s[74:75]
	s_xor_b64 s[72:73], exec, s[72:73]
	s_cbranch_execz .LBB0_1187
; %bb.1186:                             ;   in Loop: Header=BB0_30 Depth=1
	v_mov_b32_e32 v0, 1
	ds_write_b32 v0, v0
	s_trap 2
.LBB0_1187:                             ;   in Loop: Header=BB0_30 Depth=1
	s_or_b64 exec, exec, s[62:63]
	;;#ASMSTART
	s_wakeup
	;;#ASMEND
.LBB0_1188:                             ;   in Loop: Header=BB0_30 Depth=1
	s_or_b64 exec, exec, s[60:61]
.LBB0_1189:                             ;   in Loop: Header=BB0_30 Depth=1
	s_andn2_saveexec_b64 s[18:19], s[18:19]
	s_cbranch_execz .LBB0_1191
; %bb.1190:                             ;   in Loop: Header=BB0_30 Depth=1
	s_waitcnt lgkmcnt(0)
	buffer_wbinvl1_vol
	s_barrier
.LBB0_1191:                             ;   in Loop: Header=BB0_30 Depth=1
	s_or_b64 exec, exec, s[18:19]
.LBB0_1192:                             ;   in Loop: Header=BB0_30 Depth=1
	s_or_b64 exec, exec, s[16:17]
	s_and_saveexec_b64 s[16:17], s[14:15]
	s_cbranch_execz .LBB0_29
; %bb.1193:                             ;   in Loop: Header=BB0_30 Depth=1
	buffer_load_dword v9, off, s[0:3], s32 offset:88 ; 4-byte Folded Reload
	buffer_load_dword v10, off, s[0:3], s32 offset:92 ; 4-byte Folded Reload
	v_add_co_u32_e32 v38, vcc, 1, v38
	v_addc_co_u32_e32 v39, vcc, 0, v39, vcc
	s_waitcnt vmcnt(0)
	flat_store_dwordx2 v[9:10], v[38:39]
	s_branch .LBB0_29
.LBB0_1194:
	s_or_b64 exec, exec, s[28:29]
	buffer_load_dword v31, off, s[0:3], s32 offset:228 ; 4-byte Folded Reload
	buffer_load_dword v11, off, s[0:3], s32 offset:232 ; 4-byte Folded Reload
	;; [unrolled: 1-line block ×6, first 2 shown]
	s_or_b64 exec, exec, s[24:25]
	s_and_saveexec_b64 s[6:7], s[22:23]
	s_cbranch_execz .LBB0_26
.LBB0_1195:
	s_waitcnt vmcnt(0) lgkmcnt(0)
	flat_store_dwordx2 v[28:29], v[38:39] offset:104
	s_or_b64 exec, exec, s[6:7]
	s_and_saveexec_b64 s[6:7], s[4:5]
	s_cbranch_execz .LBB0_27
.LBB0_1196:
	s_waitcnt vmcnt(0) lgkmcnt(0)
	flat_store_dwordx2 v[8:9], v[15:16] offset:104
	s_or_b64 exec, exec, s[6:7]
	v_cmp_ne_u32_e32 vcc, 64, v1
	s_and_saveexec_b64 s[4:5], vcc
	s_cbranch_execz .LBB0_1214
.LBB0_1197:
	s_waitcnt vmcnt(0)
	v_cmp_ne_u32_sdwa s[6:7], v1, v11 src0_sel:DWORD src1_sel:WORD_0
	s_and_saveexec_b64 s[8:9], s[6:7]
	s_xor_b64 s[6:7], exec, s[8:9]
	s_cbranch_execz .LBB0_1212
; %bb.1198:
	s_waitcnt lgkmcnt(0)
	v_and_b32_e32 v0, 63, v31
	v_cmp_eq_u32_e32 vcc, 0, v0
	s_and_saveexec_b64 s[8:9], vcc
	s_cbranch_execz .LBB0_1211
; %bb.1199:
	s_mov_b64 s[12:13], exec
	v_mbcnt_lo_u32_b32 v0, s12, 0
	v_mbcnt_hi_u32_b32 v0, s13, v0
	v_cmp_eq_u32_e32 vcc, 0, v0
	buffer_wbinvl1_vol
	s_and_saveexec_b64 s[10:11], vcc
	s_cbranch_execz .LBB0_1201
; %bb.1200:
	s_bcnt1_i32_b64 s12, s[12:13]
	v_mov_b32_e32 v4, s12
	v_mov_b32_e32 v5, 0
	ds_add_u64 v0, v[4:5]
	s_trap 2
.LBB0_1201:
	s_or_b64 exec, exec, s[10:11]
	v_lshrrev_b32_e32 v0, 6, v1
	s_trap 2
	ds_read_b64 v[4:5], v0
	s_waitcnt lgkmcnt(0)
	v_add_co_u32_e32 v0, vcc, v2, v0
	v_addc_co_u32_e32 v1, vcc, 0, v3, vcc
	v_cmp_lt_u64_e32 vcc, v[4:5], v[0:1]
	s_and_saveexec_b64 s[10:11], vcc
	s_cbranch_execz .LBB0_1210
; %bb.1202:
	s_mov_b32 s24, 0
	s_mov_b64 s[12:13], 0
                                        ; implicit-def: $sgpr14_sgpr15
                                        ; implicit-def: $sgpr16_sgpr17
	s_branch .LBB0_1204
.LBB0_1203:                             ;   in Loop: Header=BB0_1204 Depth=1
	s_or_b64 exec, exec, s[20:21]
	s_and_b64 s[18:19], exec, s[22:23]
	s_or_b64 s[12:13], s[18:19], s[12:13]
	s_andn2_b64 s[14:15], s[14:15], exec
	s_and_b64 s[18:19], s[16:17], exec
	s_or_b64 s[14:15], s[14:15], s[18:19]
	s_andn2_b64 exec, exec, s[12:13]
	s_cbranch_execz .LBB0_1208
.LBB0_1204:                             ; =>This Inner Loop Header: Depth=1
	s_add_i32 s24, s24, 1
	s_cmpk_lg_i32 s24, 0x2710
	s_cselect_b64 s[18:19], -1, 0
	s_and_b64 vcc, exec, s[18:19]
	s_cbranch_vccz .LBB0_1206
; %bb.1205:                             ;   in Loop: Header=BB0_1204 Depth=1
	s_mov_b64 s[22:23], -1
	s_or_b64 s[16:17], s[16:17], exec
	s_and_saveexec_b64 s[20:21], s[18:19]
	s_cbranch_execz .LBB0_1203
	s_branch .LBB0_1207
.LBB0_1206:                             ;   in Loop: Header=BB0_1204 Depth=1
	s_trap 2
	ds_read_b64 v[2:3], v0
	s_andn2_b64 s[18:19], s[18:19], exec
	s_mov_b32 s24, 0
	s_waitcnt lgkmcnt(0)
	flat_load_dword v2, v[2:3] glc
	s_waitcnt vmcnt(0) lgkmcnt(0)
	buffer_wbinvl1_vol
	v_cmp_eq_u32_e32 vcc, 0, v2
	s_and_b64 s[20:21], vcc, exec
	s_or_b64 s[18:19], s[18:19], s[20:21]
	s_mov_b64 s[22:23], -1
	s_or_b64 s[16:17], s[16:17], exec
	s_and_saveexec_b64 s[20:21], s[18:19]
	s_cbranch_execz .LBB0_1203
.LBB0_1207:                             ;   in Loop: Header=BB0_1204 Depth=1
	s_sleep 1
	s_trap 2
	ds_read_b64 v[2:3], v0
	s_waitcnt lgkmcnt(0)
	s_andn2_b64 s[16:17], s[16:17], exec
	v_cmp_ge_u64_e32 vcc, v[2:3], v[0:1]
	s_orn2_b64 s[22:23], vcc, exec
	s_branch .LBB0_1203
.LBB0_1208:
	s_or_b64 exec, exec, s[12:13]
	s_and_saveexec_b64 s[12:13], s[14:15]
	s_xor_b64 s[12:13], exec, s[12:13]
	s_cbranch_execz .LBB0_1210
; %bb.1209:
	v_mov_b32_e32 v0, 1
	ds_write_b32 v0, v0
	s_trap 2
.LBB0_1210:
	s_or_b64 exec, exec, s[10:11]
	;;#ASMSTART
	s_wakeup
	;;#ASMEND
.LBB0_1211:
	s_or_b64 exec, exec, s[8:9]
.LBB0_1212:
	s_andn2_saveexec_b64 s[6:7], s[6:7]
	s_cbranch_execz .LBB0_1214
; %bb.1213:
	s_waitcnt lgkmcnt(0)
	buffer_wbinvl1_vol
	s_barrier
.LBB0_1214:
	s_or_b64 exec, exec, s[4:5]
	buffer_load_dword v62, off, s[0:3], s32 ; 4-byte Folded Reload
	buffer_load_dword v61, off, s[0:3], s32 offset:4 ; 4-byte Folded Reload
	buffer_load_dword v60, off, s[0:3], s32 offset:8 ; 4-byte Folded Reload
	;; [unrolled: 1-line block ×14, first 2 shown]
	v_readlane_b32 s30, v63, 7
	v_readlane_b32 s31, v63, 8
	v_readlane_b32 s48, v63, 6
	v_readlane_b32 s39, v63, 5
	v_readlane_b32 s38, v63, 4
	v_readlane_b32 s37, v63, 3
	v_readlane_b32 s36, v63, 2
	v_readlane_b32 s35, v63, 1
	v_readlane_b32 s34, v63, 0
	s_or_saveexec_b64 s[4:5], -1
	buffer_load_dword v63, off, s[0:3], s32 offset:252 ; 4-byte Folded Reload
	s_mov_b64 exec, s[4:5]
	s_waitcnt vmcnt(0) lgkmcnt(0)
	s_setpc_b64 s[30:31]
.Lfunc_end0:
	.size	_ZN12_GLOBAL__N_17runRingI14__hip_fp8_e4m313FuncPreMulSumIS1_E7ProtoLLLi0ELi1ELi0EEEviiP15ncclDevWorkColl, .Lfunc_end0-_ZN12_GLOBAL__N_17runRingI14__hip_fp8_e4m313FuncPreMulSumIS1_E7ProtoLLLi0ELi1ELi0EEEviiP15ncclDevWorkColl
                                        ; -- End function
	.set .L_ZN12_GLOBAL__N_17runRingI14__hip_fp8_e4m313FuncPreMulSumIS1_E7ProtoLLLi0ELi1ELi0EEEviiP15ncclDevWorkColl.num_vgpr, 64
	.set .L_ZN12_GLOBAL__N_17runRingI14__hip_fp8_e4m313FuncPreMulSumIS1_E7ProtoLLLi0ELi1ELi0EEEviiP15ncclDevWorkColl.num_agpr, 0
	.set .L_ZN12_GLOBAL__N_17runRingI14__hip_fp8_e4m313FuncPreMulSumIS1_E7ProtoLLLi0ELi1ELi0EEEviiP15ncclDevWorkColl.numbered_sgpr, 96
	.set .L_ZN12_GLOBAL__N_17runRingI14__hip_fp8_e4m313FuncPreMulSumIS1_E7ProtoLLLi0ELi1ELi0EEEviiP15ncclDevWorkColl.num_named_barrier, 0
	.set .L_ZN12_GLOBAL__N_17runRingI14__hip_fp8_e4m313FuncPreMulSumIS1_E7ProtoLLLi0ELi1ELi0EEEviiP15ncclDevWorkColl.private_seg_size, 260
	.set .L_ZN12_GLOBAL__N_17runRingI14__hip_fp8_e4m313FuncPreMulSumIS1_E7ProtoLLLi0ELi1ELi0EEEviiP15ncclDevWorkColl.uses_vcc, 1
	.set .L_ZN12_GLOBAL__N_17runRingI14__hip_fp8_e4m313FuncPreMulSumIS1_E7ProtoLLLi0ELi1ELi0EEEviiP15ncclDevWorkColl.uses_flat_scratch, 0
	.set .L_ZN12_GLOBAL__N_17runRingI14__hip_fp8_e4m313FuncPreMulSumIS1_E7ProtoLLLi0ELi1ELi0EEEviiP15ncclDevWorkColl.has_dyn_sized_stack, 0
	.set .L_ZN12_GLOBAL__N_17runRingI14__hip_fp8_e4m313FuncPreMulSumIS1_E7ProtoLLLi0ELi1ELi0EEEviiP15ncclDevWorkColl.has_recursion, 0
	.set .L_ZN12_GLOBAL__N_17runRingI14__hip_fp8_e4m313FuncPreMulSumIS1_E7ProtoLLLi0ELi1ELi0EEEviiP15ncclDevWorkColl.has_indirect_call, 0
	.section	.AMDGPU.csdata,"",@progbits
; Function info:
; codeLenInByte = 36048
; TotalNumSgprs: 100
; NumVgprs: 64
; ScratchSize: 260
; MemoryBound: 0
	.text
	.p2align	2                               ; -- Begin function _Z56ncclDevFunc_ReduceScatter_RING_LL_PreMulSum_f8e4m3_0_0_1v
	.type	_Z56ncclDevFunc_ReduceScatter_RING_LL_PreMulSum_f8e4m3_0_0_1v,@function
_Z56ncclDevFunc_ReduceScatter_RING_LL_PreMulSum_f8e4m3_0_0_1v: ; @_Z56ncclDevFunc_ReduceScatter_RING_LL_PreMulSum_f8e4m3_0_0_1v
; %bb.0:
	s_waitcnt vmcnt(0) expcnt(0) lgkmcnt(0)
	s_mov_b32 s4, s33
	s_mov_b32 s33, s32
	s_or_saveexec_b64 s[6:7], -1
	buffer_store_dword v43, off, s[0:3], s33 offset:16 ; 4-byte Folded Spill
	s_mov_b64 exec, s[6:7]
	v_writelane_b32 v43, s4, 15
	s_addk_i32 s32, 0x800
	buffer_store_dword v40, off, s[0:3], s33 offset:12 ; 4-byte Folded Spill
	buffer_store_dword v41, off, s[0:3], s33 offset:8 ; 4-byte Folded Spill
	;; [unrolled: 1-line block ×3, first 2 shown]
	buffer_store_dword v63, off, s[0:3], s33 ; 4-byte Folded Spill
	v_writelane_b32 v43, s34, 0
	v_writelane_b32 v43, s35, 1
	v_writelane_b32 v43, s36, 2
	v_writelane_b32 v43, s37, 3
	v_writelane_b32 v43, s38, 4
	v_writelane_b32 v43, s39, 5
	v_writelane_b32 v43, s48, 6
	v_writelane_b32 v43, s49, 7
	v_writelane_b32 v43, s50, 8
	v_writelane_b32 v43, s51, 9
	v_writelane_b32 v43, s52, 10
	v_writelane_b32 v43, s53, 11
	v_writelane_b32 v43, s54, 12
	v_writelane_b32 v43, s30, 13
	v_writelane_b32 v43, s31, 14
	s_trap 2
	ds_read_b32 v0, v0
	v_mov_b32_e32 v40, v31
	v_and_b32_e32 v41, 0x3ff, v40
	s_mov_b32 s49, s12
	s_mov_b64 s[50:51], s[8:9]
	s_waitcnt lgkmcnt(0)
	v_cmp_lt_i32_e32 vcc, v41, v0
	s_and_saveexec_b64 s[4:5], vcc
	s_cbranch_execz .LBB1_5
; %bb.1:
	s_load_dword s6, s[50:51], 0x0
	v_mov_b32_e32 v1, 0
	s_mov_b32 s10, 0
	v_mov_b32_e32 v4, v41
                                        ; implicit-def: $vgpr3
	s_waitcnt lgkmcnt(0)
	s_cmp_lt_u32 s49, s6
	s_cselect_b32 s6, 12, 18
	s_add_u32 s6, s50, s6
	s_addc_u32 s7, s51, 0
	global_load_ushort v1, v1, s[6:7]
	s_trap 2
	ds_read_b32 v2, v0
	s_mov_b64 s[6:7], 0
	s_waitcnt vmcnt(0) lgkmcnt(0)
	v_mul_lo_u32 v2, v2, v1
	s_branch .LBB1_3
.LBB1_2:                                ;   in Loop: Header=BB1_3 Depth=1
	s_or_b64 exec, exec, s[8:9]
	v_add_u32_e32 v4, v4, v1
	v_cmp_ge_i32_e32 vcc, v4, v0
	s_or_b64 s[6:7], vcc, s[6:7]
	v_add_u32_e32 v3, v3, v2
	s_andn2_b64 exec, exec, s[6:7]
	s_cbranch_execz .LBB1_5
.LBB1_3:                                ; =>This Inner Loop Header: Depth=1
	ds_read_b32 v5, v3
	s_waitcnt lgkmcnt(0)
	v_and_b32_e32 v5, 0x1000000, v5
	v_cmp_ne_u32_e32 vcc, 0, v5
	s_and_saveexec_b64 s[8:9], vcc
	s_cbranch_execz .LBB1_2
; %bb.4:                                ;   in Loop: Header=BB1_3 Depth=1
	ds_read_b64 v[5:6], v3 offset:104
	s_waitcnt lgkmcnt(0)
	flat_load_ubyte v5, v[5:6]
	v_mov_b32_e32 v6, s10
	s_waitcnt vmcnt(0) lgkmcnt(0)
	v_and_b32_e32 v5, 0xffff, v5
	ds_write_b64 v3, v[5:6] offset:104
	s_branch .LBB1_2
.LBB1_5:
	s_or_b64 exec, exec, s[4:5]
	s_waitcnt vmcnt(0) lgkmcnt(0)
	s_barrier
	s_trap 2
	ds_read_b32 v0, v0
	s_waitcnt lgkmcnt(0)
	v_cmp_gt_i32_e32 vcc, 1, v0
	s_cbranch_vccnz .LBB1_13
; %bb.6:
	s_mov_b32 s54, 0
	v_mov_b32_e32 v42, 6
	s_branch .LBB1_8
.LBB1_7:                                ;   in Loop: Header=BB1_8 Depth=1
	s_or_b64 exec, exec, s[52:53]
	s_trap 2
	ds_read_b32 v0, v0
	s_add_i32 s54, s54, 1
	s_waitcnt lgkmcnt(0)
	v_cmp_lt_i32_e32 vcc, s54, v0
	s_cbranch_vccz .LBB1_13
.LBB1_8:                                ; =>This Inner Loop Header: Depth=1
	s_trap 2
	ds_read_b32 v0, v0
	s_cmp_eq_u32 s54, 0
	s_cbranch_scc1 .LBB1_11
; %bb.9:                                ;   in Loop: Header=BB1_8 Depth=1
	s_trap 2
	s_waitcnt lgkmcnt(0)
	ds_read_b32 v1, v0
	s_waitcnt lgkmcnt(0)
	v_xor_b32_e32 v1, v1, v0
	v_and_b32_e32 v1, 0xff0000, v1
	v_cmp_eq_u32_e32 vcc, 0, v1
	s_cbranch_vccnz .LBB1_11
; %bb.10:                               ;   in Loop: Header=BB1_8 Depth=1
	s_barrier
	ds_read_b32 v0, v0
.LBB1_11:                               ;   in Loop: Header=BB1_8 Depth=1
	s_waitcnt lgkmcnt(0)
	v_lshlrev_b32_sdwa v1, v42, v0 dst_sel:DWORD dst_unused:UNUSED_PAD src0_sel:DWORD src1_sel:BYTE_2
	v_cmp_lt_u32_e32 vcc, v41, v1
	s_and_saveexec_b64 s[52:53], vcc
	s_cbranch_execz .LBB1_7
; %bb.12:                               ;   in Loop: Header=BB1_8 Depth=1
	s_mov_b64 s[4:5], src_shared_base
	s_getpc_b64 s[6:7]
	s_add_u32 s6, s6, _ZN12_GLOBAL__N_17runRingI14__hip_fp8_e4m313FuncPreMulSumIS1_E7ProtoLLLi0ELi1ELi0EEEviiP15ncclDevWorkColl@rel32@lo+4
	s_addc_u32 s7, s7, _ZN12_GLOBAL__N_17runRingI14__hip_fp8_e4m313FuncPreMulSumIS1_E7ProtoLLLi0ELi1ELi0EEEviiP15ncclDevWorkColl@rel32@hi+12
	s_mov_b64 s[8:9], s[50:51]
	s_mov_b32 s12, s49
	v_mov_b32_e32 v31, v40
	v_mov_b32_e32 v0, v41
	;; [unrolled: 1-line block ×3, first 2 shown]
	s_swappc_b64 s[30:31], s[6:7]
	s_branch .LBB1_7
.LBB1_13:
	buffer_load_dword v63, off, s[0:3], s33 ; 4-byte Folded Reload
	buffer_load_dword v42, off, s[0:3], s33 offset:4 ; 4-byte Folded Reload
	buffer_load_dword v41, off, s[0:3], s33 offset:8 ; 4-byte Folded Reload
	;; [unrolled: 1-line block ×3, first 2 shown]
	v_readlane_b32 s30, v43, 13
	v_readlane_b32 s31, v43, 14
	;; [unrolled: 1-line block ×15, first 2 shown]
	s_mov_b32 s32, s33
	v_readlane_b32 s4, v43, 15
	s_or_saveexec_b64 s[6:7], -1
	buffer_load_dword v43, off, s[0:3], s33 offset:16 ; 4-byte Folded Reload
	s_mov_b64 exec, s[6:7]
	s_mov_b32 s33, s4
	s_waitcnt vmcnt(0)
	s_setpc_b64 s[30:31]
.Lfunc_end1:
	.size	_Z56ncclDevFunc_ReduceScatter_RING_LL_PreMulSum_f8e4m3_0_0_1v, .Lfunc_end1-_Z56ncclDevFunc_ReduceScatter_RING_LL_PreMulSum_f8e4m3_0_0_1v
                                        ; -- End function
	.set .L_Z56ncclDevFunc_ReduceScatter_RING_LL_PreMulSum_f8e4m3_0_0_1v.num_vgpr, max(64, .L_ZN12_GLOBAL__N_17runRingI14__hip_fp8_e4m313FuncPreMulSumIS1_E7ProtoLLLi0ELi1ELi0EEEviiP15ncclDevWorkColl.num_vgpr)
	.set .L_Z56ncclDevFunc_ReduceScatter_RING_LL_PreMulSum_f8e4m3_0_0_1v.num_agpr, max(0, .L_ZN12_GLOBAL__N_17runRingI14__hip_fp8_e4m313FuncPreMulSumIS1_E7ProtoLLLi0ELi1ELi0EEEviiP15ncclDevWorkColl.num_agpr)
	.set .L_Z56ncclDevFunc_ReduceScatter_RING_LL_PreMulSum_f8e4m3_0_0_1v.numbered_sgpr, max(55, .L_ZN12_GLOBAL__N_17runRingI14__hip_fp8_e4m313FuncPreMulSumIS1_E7ProtoLLLi0ELi1ELi0EEEviiP15ncclDevWorkColl.numbered_sgpr)
	.set .L_Z56ncclDevFunc_ReduceScatter_RING_LL_PreMulSum_f8e4m3_0_0_1v.num_named_barrier, max(0, .L_ZN12_GLOBAL__N_17runRingI14__hip_fp8_e4m313FuncPreMulSumIS1_E7ProtoLLLi0ELi1ELi0EEEviiP15ncclDevWorkColl.num_named_barrier)
	.set .L_Z56ncclDevFunc_ReduceScatter_RING_LL_PreMulSum_f8e4m3_0_0_1v.private_seg_size, 32+max(.L_ZN12_GLOBAL__N_17runRingI14__hip_fp8_e4m313FuncPreMulSumIS1_E7ProtoLLLi0ELi1ELi0EEEviiP15ncclDevWorkColl.private_seg_size)
	.set .L_Z56ncclDevFunc_ReduceScatter_RING_LL_PreMulSum_f8e4m3_0_0_1v.uses_vcc, or(1, .L_ZN12_GLOBAL__N_17runRingI14__hip_fp8_e4m313FuncPreMulSumIS1_E7ProtoLLLi0ELi1ELi0EEEviiP15ncclDevWorkColl.uses_vcc)
	.set .L_Z56ncclDevFunc_ReduceScatter_RING_LL_PreMulSum_f8e4m3_0_0_1v.uses_flat_scratch, or(0, .L_ZN12_GLOBAL__N_17runRingI14__hip_fp8_e4m313FuncPreMulSumIS1_E7ProtoLLLi0ELi1ELi0EEEviiP15ncclDevWorkColl.uses_flat_scratch)
	.set .L_Z56ncclDevFunc_ReduceScatter_RING_LL_PreMulSum_f8e4m3_0_0_1v.has_dyn_sized_stack, or(0, .L_ZN12_GLOBAL__N_17runRingI14__hip_fp8_e4m313FuncPreMulSumIS1_E7ProtoLLLi0ELi1ELi0EEEviiP15ncclDevWorkColl.has_dyn_sized_stack)
	.set .L_Z56ncclDevFunc_ReduceScatter_RING_LL_PreMulSum_f8e4m3_0_0_1v.has_recursion, or(1, .L_ZN12_GLOBAL__N_17runRingI14__hip_fp8_e4m313FuncPreMulSumIS1_E7ProtoLLLi0ELi1ELi0EEEviiP15ncclDevWorkColl.has_recursion)
	.set .L_Z56ncclDevFunc_ReduceScatter_RING_LL_PreMulSum_f8e4m3_0_0_1v.has_indirect_call, or(0, .L_ZN12_GLOBAL__N_17runRingI14__hip_fp8_e4m313FuncPreMulSumIS1_E7ProtoLLLi0ELi1ELi0EEEviiP15ncclDevWorkColl.has_indirect_call)
	.section	.AMDGPU.csdata,"",@progbits
; Function info:
; codeLenInByte = 848
; TotalNumSgprs: 100
; NumVgprs: 64
; ScratchSize: 292
; MemoryBound: 0
	.text
	.p2align	2                               ; -- Begin function _ZN12_GLOBAL__N_17runRingI14__hip_fp8_e4m313FuncPreMulSumIS1_E7ProtoLLLi0ELi2ELi0EEEviiP15ncclDevWorkColl
	.type	_ZN12_GLOBAL__N_17runRingI14__hip_fp8_e4m313FuncPreMulSumIS1_E7ProtoLLLi0ELi2ELi0EEEviiP15ncclDevWorkColl,@function
_ZN12_GLOBAL__N_17runRingI14__hip_fp8_e4m313FuncPreMulSumIS1_E7ProtoLLLi0ELi2ELi0EEEviiP15ncclDevWorkColl: ; @_ZN12_GLOBAL__N_17runRingI14__hip_fp8_e4m313FuncPreMulSumIS1_E7ProtoLLLi0ELi2ELi0EEEviiP15ncclDevWorkColl
; %bb.0:
	s_waitcnt vmcnt(0) expcnt(0) lgkmcnt(0)
	s_or_saveexec_b64 s[4:5], -1
	buffer_store_dword v63, off, s[0:3], s32 offset:252 ; 4-byte Folded Spill
	s_mov_b64 exec, s[4:5]
	buffer_store_dword v40, off, s[0:3], s32 offset:56 ; 4-byte Folded Spill
	buffer_store_dword v41, off, s[0:3], s32 offset:52 ; 4-byte Folded Spill
	;; [unrolled: 1-line block ×14, first 2 shown]
	buffer_store_dword v62, off, s[0:3], s32 ; 4-byte Folded Spill
	v_writelane_b32 v63, s34, 0
	v_writelane_b32 v63, s35, 1
	;; [unrolled: 1-line block ×9, first 2 shown]
	s_trap 2
	flat_load_dword v6, v[2:3]
	flat_load_dwordx4 v[24:27], v[2:3] offset:72
	flat_load_dwordx2 v[17:18], v[2:3] offset:88
	v_mov_b32_e32 v10, v0
	ds_read_b32 v4, v0
	s_waitcnt lgkmcnt(0)
	v_readfirstlane_b32 s20, v4
	s_waitcnt vmcnt(0)
	v_not_b32_sdwa v5, v6 dst_sel:DWORD dst_unused:UNUSED_PAD src0_sel:BYTE_0
	v_add_u32_sdwa v0, v6, v5 dst_sel:DWORD dst_unused:UNUSED_PAD src0_sel:BYTE_1 src1_sel:DWORD
	v_ashrrev_i32_e32 v7, 31, v0
	v_mul_lo_u32 v8, v27, v0
	v_mad_u64_u32 v[19:20], s[4:5], v26, v0, 0
	v_mul_lo_u32 v0, v26, v7
	v_cmp_ne_u32_sdwa s[4:5], v4, v6 src0_sel:DWORD src1_sel:BYTE_0
	ds_read_b64 v[60:61], v0
	v_add3_u32 v0, v20, v0, v8
                                        ; implicit-def: $vgpr20_vgpr21
                                        ; implicit-def: $vgpr7_vgpr8
                                        ; kill: killed $vgpr7_vgpr8
	s_and_saveexec_b64 s[6:7], s[4:5]
	s_xor_b64 s[4:5], exec, s[6:7]
	s_cbranch_execz .LBB2_6
; %bb.1:
	v_cmp_ne_u32_sdwa s[6:7], v4, v6 src0_sel:DWORD src1_sel:BYTE_1
                                        ; implicit-def: $vgpr20_vgpr21
                                        ; implicit-def: $vgpr6_vgpr7
                                        ; kill: killed $vgpr6_vgpr7
	s_and_saveexec_b64 s[10:11], s[6:7]
	s_xor_b64 s[6:7], exec, s[10:11]
	s_cbranch_execz .LBB2_3
; %bb.2:
	flat_load_dwordx2 v[6:7], v[2:3] offset:96
	v_add_u32_e32 v4, v4, v5
	v_ashrrev_i32_e32 v5, 31, v4
	v_mul_lo_u32 v5, v26, v5
	v_mul_lo_u32 v8, v27, v4
	v_mad_u64_u32 v[11:12], s[10:11], v26, v4, v[24:25]
	v_add3_u32 v12, v8, v12, v5
	buffer_store_dword v11, off, s[0:3], s32 offset:140 ; 4-byte Folded Spill
	s_nop 0
	buffer_store_dword v12, off, s[0:3], s32 offset:144 ; 4-byte Folded Spill
	s_waitcnt vmcnt(0) lgkmcnt(0)
	v_lshrrev_b64 v[20:21], 17, v[6:7]
.LBB2_3:
	s_andn2_saveexec_b64 s[6:7], s[6:7]
	s_cbranch_execz .LBB2_5
; %bb.4:
	flat_load_dword v4, v[2:3] offset:100
	v_add_co_u32_e32 v5, vcc, v19, v24
	v_mov_b32_e32 v27, v18
	v_addc_co_u32_e32 v6, vcc, v0, v25, vcc
	v_mov_b32_e32 v26, v17
	buffer_store_dword v5, off, s[0:3], s32 offset:140 ; 4-byte Folded Spill
	s_nop 0
	buffer_store_dword v6, off, s[0:3], s32 offset:144 ; 4-byte Folded Spill
	s_waitcnt vmcnt(0) lgkmcnt(0)
	v_lshrrev_b32_e32 v20, 6, v4
.LBB2_5:
	s_or_b64 exec, exec, s[6:7]
.LBB2_6:
	s_andn2_saveexec_b64 s[4:5], s[4:5]
	s_cbranch_execz .LBB2_8
; %bb.7:
	flat_load_dwordx2 v[4:5], v[2:3] offset:96
	v_mov_b32_e32 v27, v25
	v_mov_b32_e32 v26, v24
	s_waitcnt vmcnt(0) lgkmcnt(0)
	v_lshlrev_b64 v[20:21], 4, v[4:5]
	v_mov_b32_e32 v4, 0
	v_mov_b32_e32 v5, 0
	buffer_store_dword v4, off, s[0:3], s32 offset:140 ; 4-byte Folded Spill
	s_nop 0
	buffer_store_dword v5, off, s[0:3], s32 offset:144 ; 4-byte Folded Spill
.LBB2_8:
	s_or_b64 exec, exec, s[4:5]
	flat_load_dwordx4 v[4:7], v[2:3] offset:16
	s_mov_b32 s13, 0
	v_mov_b32_e32 v62, 0
	s_waitcnt vmcnt(0) lgkmcnt(0)
	buffer_store_dword v4, off, s[0:3], s32 offset:188 ; 4-byte Folded Spill
	s_nop 0
	buffer_store_dword v5, off, s[0:3], s32 offset:192 ; 4-byte Folded Spill
	buffer_store_dword v6, off, s[0:3], s32 offset:196 ; 4-byte Folded Spill
	;; [unrolled: 1-line block ×3, first 2 shown]
	flat_load_dwordx2 v[15:16], v[2:3] offset:104
	flat_load_ushort v14, v[2:3] offset:8
	flat_load_dword v13, v[2:3] offset:4
	v_mov_b32_e32 v2, 0
	s_waitcnt vmcnt(0) lgkmcnt(0)
	v_cmp_ne_u16_sdwa s[6:7], v15, v2 src0_sel:BYTE_0 src1_sel:DWORD
	s_and_saveexec_b64 s[4:5], s[6:7]
	s_cbranch_execz .LBB2_14
; %bb.9:
	s_movk_i32 s6, 0x80
	v_cmp_ne_u16_sdwa s[10:11], v15, s6 src0_sel:BYTE_0 src1_sel:DWORD
	v_bfrev_b32_e32 v62, 1
	s_and_saveexec_b64 s[6:7], s[10:11]
	s_cbranch_execz .LBB2_13
; %bb.10:
	s_movk_i32 s10, 0x7f
	v_and_b32_e32 v3, 0x7f, v15
	v_cmp_ne_u32_e32 vcc, s10, v3
	v_mov_b32_e32 v62, 0x7f800001
	s_and_saveexec_b64 s[10:11], vcc
	s_cbranch_execz .LBB2_12
; %bb.11:
	v_and_b32_e32 v4, 7, v15
	v_ffbh_u32_e32 v4, v4
	v_min_u32_e32 v4, 32, v4
	v_subrev_u32_e32 v6, 28, v4
	v_cmp_gt_u32_e32 vcc, 8, v3
	v_lshrrev_b32_e32 v5, 3, v3
	v_sub_u32_e32 v4, 29, v4
	v_cndmask_b32_e32 v3, 0, v6, vcc
	v_cndmask_b32_e32 v5, v5, v4, vcc
	v_lshlrev_b64 v[3:4], v3, v[15:16]
	v_lshlrev_b32_e32 v4, 24, v15
	v_lshlrev_b32_e32 v3, 20, v3
	v_bfrev_b32_e32 v6, 60
	v_and_b32_e32 v3, 0x700000, v3
	v_and_b32_e32 v4, 0x80000000, v4
	v_lshl_add_u32 v5, v5, 23, v6
	v_or3_b32 v62, v4, v5, v3
.LBB2_12:
	s_or_b64 exec, exec, s[10:11]
.LBB2_13:
	s_or_b64 exec, exec, s[6:7]
.LBB2_14:
	s_or_b64 exec, exec, s[4:5]
	s_load_dword s4, s[8:9], 0x0
	v_lshrrev_b64 v[3:4], 31, v[13:14]
	v_and_b32_e32 v4, 63, v10
	v_mov_b32_e32 v8, 0
	v_and_b32_e32 v5, 3, v3
	s_waitcnt lgkmcnt(0)
	s_cmp_lt_u32 s12, s4
	s_cselect_b32 s4, 12, 18
	s_add_u32 s4, s8, s4
	s_addc_u32 s5, s9, 0
	global_load_ushort v11, v2, s[4:5]
	s_trap 2
	ds_read_b32 v2, v0
	v_mov_b32_e32 v9, 0
	v_cmp_eq_u32_e64 s[4:5], 0, v4
	s_waitcnt lgkmcnt(0)
	v_cmp_gt_i32_e32 vcc, 0, v2
	v_readfirstlane_b32 s8, v2
	s_cbranch_vccnz .LBB2_16
; %bb.15:
	s_trap 2
	ds_read_b64 v[6:7], v0
	v_mov_b32_e32 v3, 0
	v_lshlrev_b64 v[2:3], 3, v[2:3]
	s_movk_i32 s6, 0xa8
	s_mov_b32 s13, 1
	s_waitcnt lgkmcnt(0)
	v_add_co_u32_e32 v2, vcc, v6, v2
	v_addc_co_u32_e32 v3, vcc, v7, v3, vcc
	flat_load_dwordx2 v[2:3], v[2:3]
	v_and_b32_e32 v6, 0xffff, v5
	s_waitcnt vmcnt(0) lgkmcnt(0)
	v_mad_u64_u32 v[2:3], s[6:7], v6, s6, v[2:3]
	flat_load_dwordx2 v[6:7], v[2:3] offset:504
	v_add_co_u32_e32 v28, vcc, 0x1f8, v2
	v_addc_co_u32_e32 v29, vcc, 0, v3, vcc
	s_waitcnt vmcnt(0) lgkmcnt(0)
	buffer_store_dword v6, off, s[0:3], s32 offset:96 ; 4-byte Folded Spill
	s_nop 0
	buffer_store_dword v7, off, s[0:3], s32 offset:100 ; 4-byte Folded Spill
	flat_load_dwordx2 v[34:35], v[2:3] offset:608
	v_cndmask_b32_e64 v3, 0, v29, s[4:5]
	v_cndmask_b32_e64 v2, 0, v28, s[4:5]
	s_branch .LBB2_17
.LBB2_16:
	v_mov_b32_e32 v28, 0
	v_mov_b32_e32 v2, 0
	;; [unrolled: 1-line block ×4, first 2 shown]
                                        ; implicit-def: $vgpr34_vgpr35
                                        ; implicit-def: $vgpr6_vgpr7
                                        ; kill: killed $vgpr6_vgpr7
.LBB2_17:
	s_trap 2
	ds_read_b32 v13, v0
	s_waitcnt lgkmcnt(0)
	v_cmp_gt_i32_e32 vcc, 0, v13
	s_cbranch_vccnz .LBB2_19
; %bb.18:
	s_trap 2
	ds_read_b64 v[6:7], v0
	v_mov_b32_e32 v14, 0
	v_lshlrev_b64 v[8:9], 3, v[13:14]
	v_and_b32_e32 v5, 0xffff, v5
	s_movk_i32 s4, 0xa8
	s_waitcnt lgkmcnt(0)
	v_add_co_u32_e32 v6, vcc, v6, v8
	v_addc_co_u32_e32 v7, vcc, v7, v9, vcc
	flat_load_dwordx2 v[6:7], v[6:7]
	v_cmp_eq_u32_e32 vcc, 0, v4
	s_waitcnt vmcnt(0) lgkmcnt(0)
	v_mad_u64_u32 v[8:9], s[4:5], v5, s4, v[6:7]
	flat_load_dwordx2 v[5:6], v[8:9]
	v_cndmask_b32_e32 v16, 0, v9, vcc
	v_cndmask_b32_e32 v15, 0, v8, vcc
	s_waitcnt vmcnt(0) lgkmcnt(0)
	buffer_store_dword v5, off, s[0:3], s32 offset:68 ; 4-byte Folded Spill
	s_nop 0
	buffer_store_dword v6, off, s[0:3], s32 offset:72 ; 4-byte Folded Spill
	flat_load_dwordx2 v[21:22], v[8:9] offset:104
	s_branch .LBB2_20
.LBB2_19:
	v_mov_b32_e32 v15, 0
	v_mov_b32_e32 v16, 0
                                        ; implicit-def: $vgpr21_vgpr22
                                        ; implicit-def: $vgpr5_vgpr6
                                        ; kill: killed $vgpr5_vgpr6
.LBB2_20:
	v_subrev_u32_e32 v5, 64, v1
	v_cmp_ge_i32_e32 vcc, v10, v5
	v_cmp_gt_u32_e64 s[4:5], s13, v4
	v_mov_b32_e32 v13, 0
	v_mov_b32_e32 v4, 0
	;; [unrolled: 1-line block ×4, first 2 shown]
	s_and_b64 s[22:23], vcc, s[4:5]
	buffer_store_dword v4, off, s[0:3], s32 offset:88 ; 4-byte Folded Spill
	s_nop 0
	buffer_store_dword v5, off, s[0:3], s32 offset:92 ; 4-byte Folded Spill
                                        ; implicit-def: $vgpr38_vgpr39
	s_and_saveexec_b64 s[4:5], s[22:23]
	s_cbranch_execz .LBB2_22
; %bb.21:
	flat_load_dwordx2 v[4:5], v[2:3] offset:56
	s_waitcnt vmcnt(0) lgkmcnt(0)
	buffer_store_dword v4, off, s[0:3], s32 offset:88 ; 4-byte Folded Spill
	s_nop 0
	buffer_store_dword v5, off, s[0:3], s32 offset:92 ; 4-byte Folded Spill
	flat_load_dwordx2 v[38:39], v[2:3] offset:104
.LBB2_22:
	s_or_b64 exec, exec, s[4:5]
	v_mov_b32_e32 v50, 0
	v_mov_b32_e32 v51, 0
	v_cmp_gt_u32_e64 s[4:5], s13, v10
                                        ; implicit-def: $vgpr52_vgpr53
	s_and_saveexec_b64 s[6:7], s[4:5]
	s_cbranch_execz .LBB2_24
; %bb.23:
	flat_load_dwordx2 v[50:51], v[15:16] offset:56
	s_waitcnt vmcnt(0) lgkmcnt(0)
	flat_load_dwordx2 v[52:53], v[50:51] glc
	s_waitcnt vmcnt(0)
	flat_load_dwordx4 v[13:16], v[15:16] offset:96
.LBB2_24:
	s_or_b64 exec, exec, s[6:7]
	v_mov_b32_e32 v2, 0
	v_cmp_ne_u64_e32 vcc, 0, v[26:27]
	v_mov_b32_e32 v3, 0
	s_and_saveexec_b64 s[24:25], vcc
	s_cbranch_execnz .LBB2_28
; %bb.25:
	s_or_b64 exec, exec, s[24:25]
	s_and_saveexec_b64 s[6:7], s[22:23]
	s_cbranch_execnz .LBB2_1195
.LBB2_26:
	s_or_b64 exec, exec, s[6:7]
	s_and_saveexec_b64 s[6:7], s[4:5]
	s_cbranch_execnz .LBB2_1196
.LBB2_27:
	s_or_b64 exec, exec, s[6:7]
	v_cmp_ne_u32_e32 vcc, 64, v1
	s_and_saveexec_b64 s[4:5], vcc
	s_cbranch_execnz .LBB2_1197
	s_branch .LBB2_1214
.LBB2_28:
	v_add_co_u32_e32 v2, vcc, v17, v24
	s_ashr_i32 s6, s8, 31
	v_addc_co_u32_e32 v3, vcc, v18, v25, vcc
	s_lshr_b32 s6, s6, 29
	v_add_co_u32_e32 v2, vcc, v2, v19
	s_ashr_i32 s21, s20, 31
	s_add_i32 s8, s8, s6
	v_addc_co_u32_e32 v0, vcc, v3, v0, vcc
	s_lshl_b64 s[6:7], s[20:21], 2
	buffer_store_dword v28, off, s[0:3], s32 offset:244 ; 4-byte Folded Spill
	s_nop 0
	buffer_store_dword v29, off, s[0:3], s32 offset:248 ; 4-byte Folded Spill
	buffer_store_dword v8, off, s[0:3], s32 offset:236 ; 4-byte Folded Spill
	s_nop 0
	buffer_store_dword v9, off, s[0:3], s32 offset:240 ; 4-byte Folded Spill
	buffer_store_dword v2, off, s[0:3], s32 offset:80 ; 4-byte Folded Spill
	;; [unrolled: 1-line block ×3, first 2 shown]
	v_mov_b32_e32 v0, s7
	v_add_co_u32_e32 v2, vcc, s6, v60
	v_addc_co_u32_e32 v0, vcc, v61, v0, vcc
	v_add_co_u32_e32 v2, vcc, -4, v2
	v_addc_co_u32_e32 v3, vcc, -1, v0, vcc
	v_and_b32_e32 v0, 63, v31
	v_cmp_eq_u32_e64 s[12:13], 0, v0
	v_lshrrev_b32_e32 v0, 6, v1
	buffer_store_dword v2, off, s[0:3], s32 offset:172 ; 4-byte Folded Spill
	s_nop 0
	buffer_store_dword v3, off, s[0:3], s32 offset:176 ; 4-byte Folded Spill
	s_waitcnt vmcnt(0)
	buffer_store_dword v11, off, s[0:3], s32 offset:232 ; 4-byte Folded Spill
	buffer_store_dword v31, off, s[0:3], s32 offset:228 ; 4-byte Folded Spill
	;; [unrolled: 1-line block ×3, first 2 shown]
	buffer_load_dword v2, off, s[0:3], s32 offset:188 ; 4-byte Folded Reload
	buffer_load_dword v3, off, s[0:3], s32 offset:192 ; 4-byte Folded Reload
	;; [unrolled: 1-line block ×4, first 2 shown]
	v_lshlrev_b32_e32 v8, 3, v10
	s_ashr_i32 s10, s8, 3
	s_and_b32 s21, s10, -16
	v_cmp_ne_u32_e64 s[10:11], 64, v1
	v_cmp_ne_u32_sdwa s[40:41], v1, v11 src0_sel:DWORD src1_sel:WORD_0
	v_lshlrev_b32_e32 v25, 3, v1
	v_mov_b32_e32 v41, 0
	v_mov_b32_e32 v11, v41
	s_ashr_i32 s34, s8, 7
	v_cmp_ne_u64_e64 s[6:7], 0, v[50:51]
	s_waitcnt lgkmcnt(0)
	v_cmp_ne_u64_e64 s[8:9], 0, v[13:14]
	s_cmp_gt_i32 s20, 2
	v_mov_b32_e32 v36, 0
	v_and_b32_e32 v28, 0x1fffff0, v20
	s_mov_b32 s27, 0
	v_mov_b32_e32 v29, v41
	s_mov_b64 s[28:29], 0
	s_cselect_b64 s[42:43], -1, 0
	v_mov_b32_e32 v37, 0
	s_mov_b64 s[44:45], 0x7ffffff8
	s_movk_i32 s35, 0xff
	s_movk_i32 s36, 0x80
	;; [unrolled: 1-line block ×3, first 2 shown]
	s_mov_b64 s[46:47], 0x7f800000
	s_mov_b64 s[56:57], 0x43e00001
	s_movk_i32 s38, 0x7a
	s_mov_b64 s[58:59], 0xffffff
	s_mov_b32 s39, 0xffffff
	v_mov_b32_e32 v54, 0xffffff82
	v_mov_b32_e32 v55, 24
	;; [unrolled: 1-line block ×3, first 2 shown]
	s_waitcnt vmcnt(1)
	v_add_co_u32_e32 v0, vcc, v4, v8
	buffer_store_dword v0, off, s[0:3], s32 offset:204 ; 4-byte Folded Spill
	s_waitcnt vmcnt(1)
	v_addc_co_u32_e32 v0, vcc, 0, v5, vcc
	buffer_store_dword v0, off, s[0:3], s32 offset:208 ; 4-byte Folded Spill
	v_add_co_u32_e32 v0, vcc, v2, v8
	buffer_load_dword v6, off, s[0:3], s32 offset:88 ; 4-byte Folded Reload
	buffer_load_dword v7, off, s[0:3], s32 offset:92 ; 4-byte Folded Reload
	s_waitcnt vmcnt(0)
	v_cmp_ne_u64_e64 s[14:15], 0, v[6:7]
	buffer_store_dword v0, off, s[0:3], s32 offset:212 ; 4-byte Folded Spill
	v_addc_co_u32_e32 v0, vcc, 0, v3, vcc
	buffer_store_dword v0, off, s[0:3], s32 offset:216 ; 4-byte Folded Spill
	buffer_load_dword v2, off, s[0:3], s32 offset:140 ; 4-byte Folded Reload
	buffer_load_dword v3, off, s[0:3], s32 offset:144 ; 4-byte Folded Reload
	v_bfrev_b32_e32 v7, 60
	buffer_store_dword v8, off, s[0:3], s32 offset:136 ; 4-byte Folded Spill
	s_waitcnt vmcnt(2)
	v_add_co_u32_e32 v0, vcc, v2, v4
	s_waitcnt vmcnt(1)
	v_addc_co_u32_e32 v2, vcc, v3, v5, vcc
	v_add_co_u32_e32 v3, vcc, v0, v8
	v_addc_co_u32_e32 v4, vcc, 0, v2, vcc
	v_lshlrev_b32_e32 v0, 6, v1
	buffer_store_dword v3, off, s[0:3], s32 offset:120 ; 4-byte Folded Spill
	s_nop 0
	buffer_store_dword v4, off, s[0:3], s32 offset:124 ; 4-byte Folded Spill
	buffer_store_dword v0, off, s[0:3], s32 offset:76 ; 4-byte Folded Spill
	v_mov_b32_e32 v0, v10
	buffer_store_dword v0, off, s[0:3], s32 offset:60 ; 4-byte Folded Spill
	s_nop 0
	buffer_store_dword v1, off, s[0:3], s32 offset:64 ; 4-byte Folded Spill
	buffer_load_dword v4, off, s[0:3], s32 offset:68 ; 4-byte Folded Reload
	buffer_load_dword v5, off, s[0:3], s32 offset:72 ; 4-byte Folded Reload
	v_lshlrev_b64 v[2:3], 4, v[10:11]
	v_mov_b32_e32 v9, v26
	v_mov_b32_e32 v8, 0x78
	;; [unrolled: 1-line block ×3, first 2 shown]
	s_waitcnt vmcnt(1)
	v_add_co_u32_e32 v0, vcc, v4, v2
	v_mov_b32_e32 v2, v41
	buffer_store_dword v0, off, s[0:3], s32 offset:220 ; 4-byte Folded Spill
	s_waitcnt vmcnt(1)
	v_addc_co_u32_e32 v0, vcc, v5, v3, vcc
	v_lshlrev_b64 v[5:6], 4, v[1:2]
	v_mov_b32_e32 v2, 0
	v_mov_b32_e32 v3, 0
	buffer_store_dword v0, off, s[0:3], s32 offset:224 ; 4-byte Folded Spill
	buffer_store_dword v7, off, s[0:3], s32 offset:148 ; 4-byte Folded Spill
	s_nop 0
	buffer_store_dword v8, off, s[0:3], s32 offset:152 ; 4-byte Folded Spill
	buffer_store_dword v9, off, s[0:3], s32 offset:156 ; 4-byte Folded Spill
	;; [unrolled: 1-line block ×4, first 2 shown]
	s_nop 0
	buffer_store_dword v29, off, s[0:3], s32 offset:168 ; 4-byte Folded Spill
	s_branch .LBB2_30
.LBB2_29:                               ;   in Loop: Header=BB2_30 Depth=1
	s_or_b64 exec, exec, s[16:17]
	buffer_load_dword v9, off, s[0:3], s32 offset:120 ; 4-byte Folded Reload
	buffer_load_dword v10, off, s[0:3], s32 offset:124 ; 4-byte Folded Reload
	v_add_co_u32_e32 v34, vcc, 1, v34
	v_addc_co_u32_e32 v35, vcc, 0, v35, vcc
	v_add_co_u32_e32 v36, vcc, v36, v28
	v_addc_co_u32_e32 v37, vcc, 0, v37, vcc
	s_waitcnt vmcnt(0)
	v_add_co_u32_e32 v9, vcc, v9, v28
	v_addc_co_u32_e32 v10, vcc, 0, v10, vcc
	v_cmp_ge_u64_e32 vcc, v[36:37], v[26:27]
	buffer_store_dword v9, off, s[0:3], s32 offset:120 ; 4-byte Folded Spill
	s_nop 0
	buffer_store_dword v10, off, s[0:3], s32 offset:124 ; 4-byte Folded Spill
	s_or_b64 s[28:29], vcc, s[28:29]
	s_andn2_b64 exec, exec, s[28:29]
	s_cbranch_execz .LBB2_1194
.LBB2_30:                               ; =>This Loop Header: Depth=1
                                        ;     Child Loop BB2_35 Depth 2
                                        ;     Child Loop BB2_54 Depth 2
                                        ;     Child Loop BB2_68 Depth 2
                                        ;     Child Loop BB2_251 Depth 2
                                        ;     Child Loop BB2_255 Depth 2
                                        ;       Child Loop BB2_260 Depth 3
                                        ;       Child Loop BB2_279 Depth 3
	;; [unrolled: 1-line block ×3, first 2 shown]
                                        ;         Child Loop BB2_307 Depth 4
                                        ;       Child Loop BB2_723 Depth 3
                                        ;       Child Loop BB2_296 Depth 3
                                        ;     Child Loop BB2_738 Depth 2
                                        ;       Child Loop BB2_746 Depth 3
                                        ;     Child Loop BB2_1181 Depth 2
	buffer_load_dword v9, off, s[0:3], s32 offset:172 ; 4-byte Folded Reload
	buffer_load_dword v10, off, s[0:3], s32 offset:176 ; 4-byte Folded Reload
	s_waitcnt vmcnt(0) lgkmcnt(0)
	flat_load_dword v0, v[9:10]
	v_sub_co_u32_e32 v9, vcc, v26, v36
	v_subb_co_u32_e32 v10, vcc, v27, v37, vcc
	v_cmp_lt_u64_e32 vcc, v[28:29], v[9:10]
	v_cndmask_b32_e32 v4, v9, v28, vcc
	v_lshl_add_u32 v9, v4, 1, 14
	v_and_b32_e32 v9, 0x7fffff0, v9
	buffer_store_dword v9, off, s[0:3], s32 offset:112 ; 4-byte Folded Spill
	s_and_saveexec_b64 s[18:19], s[6:7]
	s_cbranch_execz .LBB2_46
; %bb.31:                               ;   in Loop: Header=BB2_30 Depth=1
	v_add_co_u32_e32 v17, vcc, 1, v15
	v_addc_co_u32_e32 v18, vcc, 0, v16, vcc
	v_add_co_u32_e32 v9, vcc, 8, v52
	v_addc_co_u32_e32 v10, vcc, 0, v53, vcc
	v_cmp_lt_u64_e32 vcc, v[9:10], v[17:18]
	s_and_saveexec_b64 s[60:61], vcc
	s_cbranch_execz .LBB2_43
; %bb.32:                               ;   in Loop: Header=BB2_30 Depth=1
	s_mov_b32 s26, 0
	v_cmp_eq_u32_e32 vcc, 0, v12
	s_mov_b64 s[62:63], 0
                                        ; implicit-def: $sgpr72_sgpr73
                                        ; implicit-def: $sgpr74_sgpr75
                                        ; implicit-def: $sgpr76_sgpr77
	s_branch .LBB2_35
.LBB2_33:                               ;   in Loop: Header=BB2_35 Depth=2
	s_or_b64 exec, exec, s[94:95]
	s_andn2_b64 s[16:17], s[76:77], exec
	s_and_b64 s[76:77], s[90:91], exec
	s_or_b64 s[76:77], s[16:17], s[76:77]
	s_andn2_b64 s[16:17], s[74:75], exec
	s_and_b64 s[74:75], s[88:89], exec
	s_or_b64 s[74:75], s[16:17], s[74:75]
.LBB2_34:                               ;   in Loop: Header=BB2_35 Depth=2
	s_or_b64 exec, exec, s[78:79]
	s_and_b64 s[16:17], exec, s[74:75]
	s_or_b64 s[62:63], s[16:17], s[62:63]
	s_andn2_b64 s[16:17], s[72:73], exec
	s_and_b64 s[72:73], s[76:77], exec
	s_or_b64 s[72:73], s[16:17], s[72:73]
	s_andn2_b64 exec, exec, s[62:63]
	s_cbranch_execz .LBB2_40
.LBB2_35:                               ;   Parent Loop BB2_30 Depth=1
                                        ; =>  This Inner Loop Header: Depth=2
	s_sleep 1
	s_waitcnt vmcnt(0) lgkmcnt(0)
	flat_load_dwordx2 v[52:53], v[50:51] glc
	v_mov_b32_e32 v12, 1
	s_or_b64 s[76:77], s[76:77], exec
	s_or_b64 s[74:75], s[74:75], exec
                                        ; implicit-def: $vgpr9
	s_and_saveexec_b64 s[78:79], vcc
	s_cbranch_execz .LBB2_34
; %bb.36:                               ;   in Loop: Header=BB2_35 Depth=2
	s_add_i32 s26, s26, 1
	s_cmpk_lg_i32 s26, 0x2710
	s_cselect_b64 s[92:93], -1, 0
	s_cmpk_eq_i32 s26, 0x2710
	s_mov_b64 s[88:89], -1
	s_mov_b64 s[90:91], -1
                                        ; implicit-def: $vgpr9
	s_cbranch_scc1 .LBB2_38
; %bb.37:                               ;   in Loop: Header=BB2_35 Depth=2
	v_mov_b32_e32 v12, 1
	s_and_saveexec_b64 s[94:95], s[92:93]
	s_cbranch_execz .LBB2_33
	s_branch .LBB2_39
.LBB2_38:                               ;   in Loop: Header=BB2_35 Depth=2
	s_trap 2
	s_waitcnt vmcnt(0) lgkmcnt(0)
	ds_read_b64 v[9:10], v0
	s_andn2_b64 s[92:93], s[92:93], exec
	s_mov_b32 s26, 0
	s_mov_b64 s[90:91], 0
	s_waitcnt lgkmcnt(0)
	flat_load_dword v9, v[9:10] glc
	s_waitcnt vmcnt(0) lgkmcnt(0)
	buffer_wbinvl1_vol
	v_cmp_eq_u32_e64 s[16:17], 0, v9
	s_and_b64 s[16:17], s[16:17], exec
	s_or_b64 s[92:93], s[92:93], s[16:17]
	v_mov_b32_e32 v12, 1
	s_and_saveexec_b64 s[94:95], s[92:93]
	s_cbranch_execz .LBB2_33
.LBB2_39:                               ;   in Loop: Header=BB2_35 Depth=2
	s_waitcnt vmcnt(0) lgkmcnt(0)
	v_add_co_u32_e64 v10, s[16:17], 8, v52
	v_addc_co_u32_e64 v11, s[16:17], 0, v53, s[16:17]
	v_cmp_ge_u64_e64 s[16:17], v[10:11], v[17:18]
	v_mov_b32_e32 v12, 0
	s_or_b64 s[90:91], s[90:91], exec
	s_orn2_b64 s[88:89], s[16:17], exec
	s_branch .LBB2_33
.LBB2_40:                               ;   in Loop: Header=BB2_30 Depth=1
	s_or_b64 exec, exec, s[62:63]
	s_xor_b64 s[16:17], s[72:73], -1
	s_and_saveexec_b64 s[62:63], s[16:17]
	s_xor_b64 s[16:17], exec, s[62:63]
	s_cbranch_execz .LBB2_42
; %bb.41:                               ;   in Loop: Header=BB2_30 Depth=1
	v_mov_b32_e32 v12, 1
	s_waitcnt vmcnt(0) lgkmcnt(0)
	ds_write_b32 v0, v9
	s_trap 2
.LBB2_42:                               ;   in Loop: Header=BB2_30 Depth=1
	s_or_b64 exec, exec, s[16:17]
.LBB2_43:                               ;   in Loop: Header=BB2_30 Depth=1
	s_or_b64 exec, exec, s[60:61]
	s_and_saveexec_b64 s[16:17], s[8:9]
	s_cbranch_execz .LBB2_45
; %bb.44:                               ;   in Loop: Header=BB2_30 Depth=1
	v_and_b32_e32 v40, 0x7ffffff8, v15
	v_and_b32_e32 v9, 7, v15
	buffer_load_dword v15, off, s[0:3], s32 offset:112 ; 4-byte Folded Reload
	v_mad_u64_u32 v[9:10], s[60:61], v9, 24, v[13:14]
	v_cmp_eq_u64_e32 vcc, s[44:45], v[40:41]
	v_mov_b32_e32 v11, s21
	s_waitcnt vmcnt(0)
	v_cndmask_b32_e32 v15, v15, v11, vcc
	v_ashrrev_i32_e32 v16, 31, v15
	flat_store_dwordx2 v[9:10], v[15:16] offset:8
	s_waitcnt vmcnt(0)
.LBB2_45:                               ;   in Loop: Header=BB2_30 Depth=1
	s_or_b64 exec, exec, s[16:17]
	v_mov_b32_e32 v15, v17
	v_mov_b32_e32 v16, v18
.LBB2_46:                               ;   in Loop: Header=BB2_30 Depth=1
	s_or_b64 exec, exec, s[18:19]
	s_and_saveexec_b64 s[16:17], s[10:11]
	s_cbranch_execz .LBB2_65
; %bb.47:                               ;   in Loop: Header=BB2_30 Depth=1
	s_and_saveexec_b64 s[18:19], s[40:41]
	s_xor_b64 s[18:19], exec, s[18:19]
	s_cbranch_execz .LBB2_62
; %bb.48:                               ;   in Loop: Header=BB2_30 Depth=1
	s_and_saveexec_b64 s[60:61], s[12:13]
	s_cbranch_execz .LBB2_61
; %bb.49:                               ;   in Loop: Header=BB2_30 Depth=1
	s_mov_b64 s[72:73], exec
	v_mbcnt_lo_u32_b32 v9, s72, 0
	v_mbcnt_hi_u32_b32 v9, s73, v9
	v_cmp_eq_u32_e32 vcc, 0, v9
	s_waitcnt vmcnt(0) lgkmcnt(0)
	buffer_wbinvl1_vol
	s_and_saveexec_b64 s[62:63], vcc
	s_cbranch_execz .LBB2_51
; %bb.50:                               ;   in Loop: Header=BB2_30 Depth=1
	s_bcnt1_i32_b64 s26, s[72:73]
	v_mov_b32_e32 v40, s26
	ds_add_u64 v0, v[40:41]
	s_trap 2
.LBB2_51:                               ;   in Loop: Header=BB2_30 Depth=1
	s_or_b64 exec, exec, s[62:63]
	s_trap 2
	ds_read_b64 v[9:10], v0
	s_waitcnt lgkmcnt(0)
	buffer_load_dword v11, off, s[0:3], s32 offset:116 ; 4-byte Folded Reload
	s_waitcnt vmcnt(0)
	v_add_co_u32_e32 v2, vcc, v2, v11
	v_addc_co_u32_e32 v3, vcc, 0, v3, vcc
	v_cmp_lt_u64_e32 vcc, v[9:10], v[2:3]
	s_and_saveexec_b64 s[62:63], vcc
	s_cbranch_execz .LBB2_60
; %bb.52:                               ;   in Loop: Header=BB2_30 Depth=1
	s_mov_b32 s26, 0
	s_mov_b64 s[72:73], 0
                                        ; implicit-def: $sgpr74_sgpr75
                                        ; implicit-def: $sgpr76_sgpr77
	s_branch .LBB2_54
.LBB2_53:                               ;   in Loop: Header=BB2_54 Depth=2
	s_or_b64 exec, exec, s[88:89]
	s_and_b64 s[78:79], exec, s[90:91]
	s_or_b64 s[72:73], s[78:79], s[72:73]
	s_andn2_b64 s[74:75], s[74:75], exec
	s_and_b64 s[78:79], s[76:77], exec
	s_or_b64 s[74:75], s[74:75], s[78:79]
	s_andn2_b64 exec, exec, s[72:73]
	s_cbranch_execz .LBB2_58
.LBB2_54:                               ;   Parent Loop BB2_30 Depth=1
                                        ; =>  This Inner Loop Header: Depth=2
	s_add_i32 s26, s26, 1
	s_cmpk_lg_i32 s26, 0x2710
	s_cselect_b64 s[78:79], -1, 0
	s_and_b64 vcc, exec, s[78:79]
	s_cbranch_vccz .LBB2_56
; %bb.55:                               ;   in Loop: Header=BB2_54 Depth=2
	s_mov_b64 s[90:91], -1
	s_or_b64 s[76:77], s[76:77], exec
	s_and_saveexec_b64 s[88:89], s[78:79]
	s_cbranch_execz .LBB2_53
	s_branch .LBB2_57
.LBB2_56:                               ;   in Loop: Header=BB2_54 Depth=2
	s_trap 2
	ds_read_b64 v[9:10], v0
	s_andn2_b64 s[78:79], s[78:79], exec
	s_mov_b32 s26, 0
	s_waitcnt lgkmcnt(0)
	flat_load_dword v9, v[9:10] glc
	s_waitcnt vmcnt(0) lgkmcnt(0)
	buffer_wbinvl1_vol
	v_cmp_eq_u32_e32 vcc, 0, v9
	s_and_b64 s[88:89], vcc, exec
	s_or_b64 s[78:79], s[78:79], s[88:89]
	s_mov_b64 s[90:91], -1
	s_or_b64 s[76:77], s[76:77], exec
	s_and_saveexec_b64 s[88:89], s[78:79]
	s_cbranch_execz .LBB2_53
.LBB2_57:                               ;   in Loop: Header=BB2_54 Depth=2
	s_sleep 1
	s_trap 2
	ds_read_b64 v[9:10], v0
	s_waitcnt lgkmcnt(0)
	s_andn2_b64 s[76:77], s[76:77], exec
	v_cmp_ge_u64_e32 vcc, v[9:10], v[2:3]
	s_orn2_b64 s[90:91], vcc, exec
	s_branch .LBB2_53
.LBB2_58:                               ;   in Loop: Header=BB2_30 Depth=1
	s_or_b64 exec, exec, s[72:73]
	s_and_saveexec_b64 s[72:73], s[74:75]
	s_xor_b64 s[72:73], exec, s[72:73]
	s_cbranch_execz .LBB2_60
; %bb.59:                               ;   in Loop: Header=BB2_30 Depth=1
	v_mov_b32_e32 v9, 1
	ds_write_b32 v0, v9
	s_trap 2
.LBB2_60:                               ;   in Loop: Header=BB2_30 Depth=1
	s_or_b64 exec, exec, s[62:63]
	;;#ASMSTART
	s_wakeup
	;;#ASMEND
.LBB2_61:                               ;   in Loop: Header=BB2_30 Depth=1
	s_or_b64 exec, exec, s[60:61]
.LBB2_62:                               ;   in Loop: Header=BB2_30 Depth=1
	s_andn2_saveexec_b64 s[18:19], s[18:19]
	s_cbranch_execz .LBB2_64
; %bb.63:                               ;   in Loop: Header=BB2_30 Depth=1
	s_waitcnt vmcnt(0) lgkmcnt(0)
	buffer_wbinvl1_vol
	s_barrier
.LBB2_64:                               ;   in Loop: Header=BB2_30 Depth=1
	s_or_b64 exec, exec, s[18:19]
.LBB2_65:                               ;   in Loop: Header=BB2_30 Depth=1
	s_or_b64 exec, exec, s[16:17]
	buffer_load_dword v9, off, s[0:3], s32 offset:136 ; 4-byte Folded Reload
	buffer_load_dword v29, off, s[0:3], s32 offset:60 ; 4-byte Folded Reload
	;; [unrolled: 1-line block ×3, first 2 shown]
	v_add_u32_e32 v18, 1, v21
	s_waitcnt vmcnt(0)
	v_sub_u32_e32 v48, v4, v9
	v_cmp_lt_i32_e64 s[16:17], 0, v48
	v_and_b32_e32 v9, 7, v21
	s_and_saveexec_b64 s[60:61], s[16:17]
	s_cbranch_execz .LBB2_249
; %bb.66:                               ;   in Loop: Header=BB2_30 Depth=1
	buffer_load_dword v11, off, s[0:3], s32 offset:80 ; 4-byte Folded Reload
	buffer_load_dword v23, off, s[0:3], s32 offset:120 ; 4-byte Folded Reload
	;; [unrolled: 1-line block ×4, first 2 shown]
	s_waitcnt lgkmcnt(0)
	v_ashrrev_i32_e32 v4, 31, v0
	v_mul_lo_u32 v19, v9, s34
	s_mov_b64 s[62:63], 0
	v_ashrrev_i32_e32 v20, 31, v19
	v_lshlrev_b64 v[19:20], 4, v[19:20]
	s_waitcnt vmcnt(3)
	v_mul_lo_u32 v4, v11, v4
	s_waitcnt vmcnt(1)
	v_mad_u64_u32 v[46:47], s[18:19], v11, v0, v[23:24]
	s_waitcnt vmcnt(0)
	v_mul_lo_u32 v10, v10, v0
	v_mul_lo_u32 v0, v11, v0
	v_mov_b32_e32 v11, v48
	v_add3_u32 v47, v10, v47, v4
	v_add_lshl_u32 v10, v23, v0, 3
	buffer_load_dword v0, off, s[0:3], s32 offset:220 ; 4-byte Folded Reload
	s_waitcnt vmcnt(0)
	v_add_co_u32_e32 v56, vcc, v0, v19
	buffer_load_dword v0, off, s[0:3], s32 offset:224 ; 4-byte Folded Reload
	buffer_load_dword v29, off, s[0:3], s32 offset:60 ; 4-byte Folded Reload
	;; [unrolled: 1-line block ×3, first 2 shown]
	s_waitcnt vmcnt(2)
	v_addc_co_u32_e32 v57, vcc, v0, v20, vcc
	s_branch .LBB2_68
.LBB2_67:                               ;   in Loop: Header=BB2_68 Depth=2
	s_or_b64 exec, exec, s[18:19]
	v_lshlrev_b32_e32 v0, 8, v26
	v_lshlrev_b32_e32 v20, 16, v30
	v_or3_b32 v0, v0, v17, v20
	v_lshlrev_b32_e32 v4, 24, v4
	v_lshlrev_b32_e32 v17, 8, v32
	;; [unrolled: 1-line block ×3, first 2 shown]
	v_or3_b32 v20, v17, v31, v20
	v_or3_b32 v17, v0, v4, 0
	buffer_load_dword v0, off, s[0:3], s32 offset:76 ; 4-byte Folded Reload
	v_add_co_u32_e32 v46, vcc, v46, v25
	v_lshlrev_b32_e32 v19, 24, v19
	v_sub_u32_e32 v11, v11, v25
	v_addc_co_u32_e32 v47, vcc, 0, v47, vcc
	v_or3_b32 v19, v20, v19, 0
	v_mov_b32_e32 v20, v18
	v_cmp_gt_i32_e32 vcc, 1, v11
	global_store_dwordx4 v[56:57], v[17:20], off
	s_or_b64 s[62:63], vcc, s[62:63]
	v_add_co_u32_e32 v56, vcc, v56, v5
	v_add_u32_e32 v29, v29, v1
	v_addc_co_u32_e32 v57, vcc, v57, v6, vcc
	s_waitcnt vmcnt(1)
	v_add_u32_e32 v10, v10, v0
	s_andn2_b64 exec, exec, s[62:63]
	s_cbranch_execz .LBB2_248
.LBB2_68:                               ;   Parent Loop BB2_30 Depth=1
                                        ; =>  This Inner Loop Header: Depth=2
	v_and_b32_e32 v19, -4, v46
	v_mov_b32_e32 v20, v47
	global_load_dword v0, v[19:20], off glc slc
	v_min_u32_e32 v4, 8, v11
	v_and_b32_e32 v17, 3, v46
	v_add_u32_e32 v40, v17, v4
	v_cmp_lt_u32_e32 vcc, 4, v40
	v_mov_b32_e32 v31, 0
	v_mov_b32_e32 v32, 0
	s_and_saveexec_b64 s[18:19], vcc
	s_cbranch_execz .LBB2_70
; %bb.69:                               ;   in Loop: Header=BB2_68 Depth=2
	global_load_dword v32, v[19:20], off offset:4 glc slc
.LBB2_70:                               ;   in Loop: Header=BB2_68 Depth=2
	s_or_b64 exec, exec, s[18:19]
	v_cmp_lt_u64_e32 vcc, 8, v[40:41]
	s_and_saveexec_b64 s[18:19], vcc
	s_cbranch_execz .LBB2_72
; %bb.71:                               ;   in Loop: Header=BB2_68 Depth=2
	global_load_dword v31, v[19:20], off offset:8 glc slc
.LBB2_72:                               ;   in Loop: Header=BB2_68 Depth=2
	s_or_b64 exec, exec, s[18:19]
	s_waitcnt vmcnt(0)
	v_alignbit_b32 v40, v32, v0, v10
	v_cmp_ne_u16_sdwa s[72:73], v40, v41 src0_sel:BYTE_0 src1_sel:DWORD
	v_mov_b32_e32 v0, 0
	s_and_saveexec_b64 s[18:19], s[72:73]
	s_cbranch_execz .LBB2_78
; %bb.73:                               ;   in Loop: Header=BB2_68 Depth=2
	v_cmp_ne_u16_sdwa s[74:75], v40, s36 src0_sel:BYTE_0 src1_sel:DWORD
	v_bfrev_b32_e32 v0, 1
	s_and_saveexec_b64 s[72:73], s[74:75]
	s_cbranch_execz .LBB2_77
; %bb.74:                               ;   in Loop: Header=BB2_68 Depth=2
	v_and_b32_e32 v4, 0x7f, v40
	v_cmp_ne_u32_e32 vcc, s37, v4
	v_mov_b32_e32 v0, 0x7f800001
	s_and_saveexec_b64 s[74:75], vcc
	s_cbranch_execz .LBB2_76
; %bb.75:                               ;   in Loop: Header=BB2_68 Depth=2
	v_and_b32_e32 v0, 7, v40
	v_ffbh_u32_e32 v0, v0
	v_min_u32_e32 v0, 32, v0
	v_lshrrev_b32_e32 v17, 3, v4
	v_cmp_gt_u32_e32 vcc, 8, v4
	v_subrev_u32_e32 v4, 28, v0
	v_cndmask_b32_e32 v4, 0, v4, vcc
	v_lshlrev_b64 v[19:20], v4, v[40:41]
	v_sub_u32_e32 v0, 29, v0
	v_cndmask_b32_e32 v0, v17, v0, vcc
	v_lshlrev_b32_e32 v4, 20, v19
	v_lshlrev_b32_e32 v17, 24, v40
	v_and_b32_e32 v4, 0x700000, v4
	v_and_b32_e32 v17, 0x80000000, v17
	v_lshl_add_u32 v0, v0, 23, v7
	v_or3_b32 v0, v17, v0, v4
.LBB2_76:                               ;   in Loop: Header=BB2_68 Depth=2
	s_or_b64 exec, exec, s[74:75]
.LBB2_77:                               ;   in Loop: Header=BB2_68 Depth=2
	s_or_b64 exec, exec, s[72:73]
.LBB2_78:                               ;   in Loop: Header=BB2_68 Depth=2
	s_or_b64 exec, exec, s[18:19]
	v_mul_f32_e32 v4, v62, v0
	v_and_b32_e32 v19, 0x7f800000, v4
	v_mov_b32_e32 v20, v41
	v_cmp_ne_u64_e32 vcc, s[46:47], v[19:20]
                                        ; implicit-def: $vgpr17
	s_and_saveexec_b64 s[18:19], vcc
	s_xor_b64 s[72:73], exec, s[18:19]
	s_cbranch_execz .LBB2_92
; %bb.79:                               ;   in Loop: Header=BB2_68 Depth=2
	v_and_b32_e32 v19, 0x7fffffff, v4
	v_mov_b32_e32 v20, v41
	v_cmp_gt_u64_e32 vcc, s[56:57], v[19:20]
	v_and_b32_sdwa v0, v4, s36 dst_sel:DWORD dst_unused:UNUSED_PAD src0_sel:BYTE_3 src1_sel:DWORD
                                        ; implicit-def: $vgpr17
	s_and_saveexec_b64 s[18:19], vcc
	s_xor_b64 s[74:75], exec, s[18:19]
	s_cbranch_execz .LBB2_89
; %bb.80:                               ;   in Loop: Header=BB2_68 Depth=2
	v_mov_b32_e32 v17, 0
	v_cmp_ne_u32_e32 vcc, 0, v4
	s_and_saveexec_b64 s[76:77], vcc
	s_cbranch_execz .LBB2_88
; %bb.81:                               ;   in Loop: Header=BB2_68 Depth=2
	v_and_b32_e32 v19, 0x7fffff, v4
	v_bfe_u32 v4, v4, 23, 8
	v_cmp_gt_u32_e64 s[18:19], s38, v4
	v_sub_u32_e32 v17, 0x79, v4
	v_cmp_eq_u32_e32 vcc, 0, v4
	v_cndmask_b32_e64 v17, 0, v17, s[18:19]
	v_cndmask_b32_e32 v17, v17, v8, vcc
	v_add_u32_e32 v23, 20, v17
	v_or_b32_e32 v20, 0x800000, v19
	v_lshlrev_b64 v[23:24], v23, -1
	v_cndmask_b32_e32 v19, v20, v19, vcc
	v_mov_b32_e32 v20, v41
	v_add_u32_e32 v26, 19, v17
	v_bfi_b32 v23, v23, 0, v19
	v_lshlrev_b64 v[26:27], v26, 1
	v_lshrrev_b64 v[19:20], v17, v[19:20]
	v_bfi_b32 v24, v24, 0, 0
	v_cmp_eq_u64_e64 s[18:19], v[23:24], v[26:27]
	v_mov_b32_e32 v28, v20
	v_mov_b32_e32 v27, v19
	s_and_saveexec_b64 s[78:79], s[18:19]
; %bb.82:                               ;   in Loop: Header=BB2_68 Depth=2
	v_bfe_u32 v20, v19, 20, 1
	v_add_co_u32_e64 v20, s[18:19], v19, v20
	v_add_co_u32_e64 v27, s[18:19], -1, v20
; %bb.83:                               ;   in Loop: Header=BB2_68 Depth=2
	s_or_b64 exec, exec, s[78:79]
	v_add_u32_e32 v4, 0xffffff81, v4
	v_cndmask_b32_e32 v4, v4, v54, vcc
	v_lshrrev_b32_e32 v20, 23, v19
	v_add3_u32 v23, v17, v4, v20
	v_add_u32_e32 v17, 6, v23
	v_and_b32_e32 v4, 0xfffff, v27
	v_add_u32_e32 v19, v4, v19
	v_mov_b32_e32 v20, v41
	v_cmp_ne_u32_e32 vcc, 0, v17
                                        ; implicit-def: $vgpr4
	s_and_saveexec_b64 s[18:19], vcc
	s_xor_b64 s[18:19], exec, s[18:19]
; %bb.84:                               ;   in Loop: Header=BB2_68 Depth=2
	v_cmp_lt_u64_e32 vcc, s[58:59], v[19:20]
	v_add_u32_e32 v4, 7, v23
	v_cndmask_b32_e32 v4, v17, v4, vcc
	v_cndmask_b32_e64 v17, 0, 1, vcc
	v_lshrrev_b64 v[19:20], v17, v[19:20]
; %bb.85:                               ;   in Loop: Header=BB2_68 Depth=2
	s_andn2_saveexec_b64 s[18:19], s[18:19]
; %bb.86:                               ;   in Loop: Header=BB2_68 Depth=2
	v_bfe_u32 v4, v19, 23, 1
; %bb.87:                               ;   in Loop: Header=BB2_68 Depth=2
	s_or_b64 exec, exec, s[18:19]
	v_lshrrev_b64 v[19:20], 20, v[19:20]
	v_cmp_gt_i32_e32 vcc, 16, v4
	v_cndmask_b32_e32 v20, 0, v20, vcc
	v_cndmask_b32_e32 v19, 7, v19, vcc
	v_cmp_eq_u32_e32 vcc, 0, v4
	v_min_i32_e32 v4, 15, v4
	v_cmp_eq_u64_e64 s[18:19], 0, v[19:20]
	v_lshlrev_b32_e32 v4, 3, v4
	v_and_b32_e32 v4, 0xf8, v4
	v_and_or_b32 v4, v19, 7, v4
	s_and_b64 s[18:19], vcc, s[18:19]
	v_cndmask_b32_e64 v4, v4, 0, s[18:19]
	v_or_b32_e32 v17, v4, v0
.LBB2_88:                               ;   in Loop: Header=BB2_68 Depth=2
	s_or_b64 exec, exec, s[76:77]
                                        ; implicit-def: $vgpr0
.LBB2_89:                               ;   in Loop: Header=BB2_68 Depth=2
	s_andn2_saveexec_b64 s[18:19], s[74:75]
; %bb.90:                               ;   in Loop: Header=BB2_68 Depth=2
	v_or_b32_e32 v17, 0x7e, v0
; %bb.91:                               ;   in Loop: Header=BB2_68 Depth=2
	s_or_b64 exec, exec, s[18:19]
                                        ; implicit-def: $vgpr4
.LBB2_92:                               ;   in Loop: Header=BB2_68 Depth=2
	s_andn2_saveexec_b64 s[18:19], s[72:73]
; %bb.93:                               ;   in Loop: Header=BB2_68 Depth=2
	v_or_b32_sdwa v17, v4, s37 dst_sel:DWORD dst_unused:UNUSED_PAD src0_sel:BYTE_3 src1_sel:DWORD
; %bb.94:                               ;   in Loop: Header=BB2_68 Depth=2
	s_or_b64 exec, exec, s[18:19]
	v_lshrrev_b16_e32 v0, 8, v40
	v_cmp_ne_u16_e32 vcc, 0, v0
	v_mov_b32_e32 v4, 0
	s_and_saveexec_b64 s[18:19], vcc
	s_cbranch_execz .LBB2_100
; %bb.95:                               ;   in Loop: Header=BB2_68 Depth=2
	v_cmp_ne_u16_e32 vcc, s36, v0
	v_bfrev_b32_e32 v4, 1
	s_and_saveexec_b64 s[72:73], vcc
	s_cbranch_execz .LBB2_99
; %bb.96:                               ;   in Loop: Header=BB2_68 Depth=2
	v_and_b32_e32 v19, 0x7f, v0
	v_cmp_ne_u32_e32 vcc, s37, v19
	v_mov_b32_e32 v4, 0x7f800001
	s_and_saveexec_b64 s[74:75], vcc
	s_cbranch_execz .LBB2_98
; %bb.97:                               ;   in Loop: Header=BB2_68 Depth=2
	v_and_b32_e32 v4, 7, v0
	v_lshrrev_b32_e32 v23, 3, v19
	v_cmp_gt_u32_e32 vcc, 8, v19
	v_ffbh_u32_e32 v19, v4
	v_min_u32_e32 v24, 32, v19
	v_subrev_u32_e32 v19, 28, v24
	v_lshlrev_b64 v[19:20], v19, v[0:1]
	v_sub_u32_e32 v0, 29, v24
	v_and_b32_e32 v19, 7, v19
	v_cndmask_b32_e32 v0, v23, v0, vcc
	v_cndmask_b32_e32 v4, v4, v19, vcc
	v_lshlrev_b32_e32 v19, 16, v40
	v_lshlrev_b32_e32 v4, 20, v4
	v_and_b32_e32 v19, 0x80000000, v19
	v_lshl_add_u32 v0, v0, 23, v7
	v_or3_b32 v4, v19, v0, v4
.LBB2_98:                               ;   in Loop: Header=BB2_68 Depth=2
	s_or_b64 exec, exec, s[74:75]
.LBB2_99:                               ;   in Loop: Header=BB2_68 Depth=2
	s_or_b64 exec, exec, s[72:73]
.LBB2_100:                              ;   in Loop: Header=BB2_68 Depth=2
	s_or_b64 exec, exec, s[18:19]
	v_mul_f32_e32 v4, v62, v4
	v_and_b32_e32 v19, 0x7f800000, v4
	v_mov_b32_e32 v20, v41
	v_cmp_ne_u64_e32 vcc, s[46:47], v[19:20]
                                        ; implicit-def: $vgpr26
	s_and_saveexec_b64 s[18:19], vcc
	s_xor_b64 s[72:73], exec, s[18:19]
	s_cbranch_execz .LBB2_114
; %bb.101:                              ;   in Loop: Header=BB2_68 Depth=2
	v_and_b32_e32 v19, 0x7fffffff, v4
	v_mov_b32_e32 v20, v41
	v_cmp_gt_u64_e32 vcc, s[56:57], v[19:20]
	v_and_b32_sdwa v0, v4, s36 dst_sel:DWORD dst_unused:UNUSED_PAD src0_sel:BYTE_3 src1_sel:DWORD
                                        ; implicit-def: $vgpr26
	s_and_saveexec_b64 s[18:19], vcc
	s_xor_b64 s[74:75], exec, s[18:19]
	s_cbranch_execz .LBB2_111
; %bb.102:                              ;   in Loop: Header=BB2_68 Depth=2
	v_mov_b32_e32 v26, 0
	v_cmp_ne_u32_e32 vcc, 0, v4
	s_and_saveexec_b64 s[76:77], vcc
	s_cbranch_execz .LBB2_110
; %bb.103:                              ;   in Loop: Header=BB2_68 Depth=2
	v_and_b32_e32 v19, 0x7fffff, v4
	v_bfe_u32 v4, v4, 23, 8
	v_cmp_gt_u32_e64 s[18:19], s38, v4
	v_sub_u32_e32 v20, 0x79, v4
	v_cmp_eq_u32_e32 vcc, 0, v4
	v_cndmask_b32_e64 v20, 0, v20, s[18:19]
	v_or_b32_e32 v23, 0x800000, v19
	v_cndmask_b32_e32 v26, v20, v8, vcc
	v_cndmask_b32_e32 v19, v23, v19, vcc
	v_add_u32_e32 v23, 20, v26
	v_lshlrev_b64 v[23:24], v23, -1
	v_mov_b32_e32 v20, v41
	v_add_u32_e32 v27, 19, v26
	v_bfi_b32 v23, v23, 0, v19
	v_lshlrev_b64 v[27:28], v27, 1
	v_lshrrev_b64 v[19:20], v26, v[19:20]
	v_bfi_b32 v24, v24, 0, 0
	v_cmp_eq_u64_e64 s[18:19], v[23:24], v[27:28]
	v_mov_b32_e32 v28, v20
	v_mov_b32_e32 v27, v19
	s_and_saveexec_b64 s[78:79], s[18:19]
; %bb.104:                              ;   in Loop: Header=BB2_68 Depth=2
	v_bfe_u32 v20, v19, 20, 1
	v_add_co_u32_e64 v20, s[18:19], v19, v20
	v_add_co_u32_e64 v27, s[18:19], -1, v20
; %bb.105:                              ;   in Loop: Header=BB2_68 Depth=2
	s_or_b64 exec, exec, s[78:79]
	v_add_u32_e32 v4, 0xffffff81, v4
	v_cndmask_b32_e32 v4, v4, v54, vcc
	v_lshrrev_b32_e32 v20, 23, v19
	v_add3_u32 v24, v26, v4, v20
	v_add_u32_e32 v23, 6, v24
	v_and_b32_e32 v4, 0xfffff, v27
	v_add_u32_e32 v19, v4, v19
	v_mov_b32_e32 v20, v41
	v_cmp_ne_u32_e32 vcc, 0, v23
                                        ; implicit-def: $vgpr4
	s_and_saveexec_b64 s[18:19], vcc
	s_xor_b64 s[18:19], exec, s[18:19]
; %bb.106:                              ;   in Loop: Header=BB2_68 Depth=2
	v_cmp_lt_u64_e32 vcc, s[58:59], v[19:20]
	v_add_u32_e32 v4, 7, v24
	v_cndmask_b32_e32 v4, v23, v4, vcc
	v_cndmask_b32_e64 v23, 0, 1, vcc
	v_lshrrev_b64 v[19:20], v23, v[19:20]
; %bb.107:                              ;   in Loop: Header=BB2_68 Depth=2
	s_andn2_saveexec_b64 s[18:19], s[18:19]
; %bb.108:                              ;   in Loop: Header=BB2_68 Depth=2
	v_bfe_u32 v4, v19, 23, 1
; %bb.109:                              ;   in Loop: Header=BB2_68 Depth=2
	s_or_b64 exec, exec, s[18:19]
	v_lshrrev_b64 v[19:20], 20, v[19:20]
	v_cmp_gt_i32_e32 vcc, 16, v4
	v_cndmask_b32_e32 v20, 0, v20, vcc
	v_cndmask_b32_e32 v19, 7, v19, vcc
	v_cmp_eq_u32_e32 vcc, 0, v4
	v_min_i32_e32 v4, 15, v4
	v_cmp_eq_u64_e64 s[18:19], 0, v[19:20]
	v_lshlrev_b32_e32 v4, 3, v4
	v_and_b32_e32 v4, 0xf8, v4
	v_and_or_b32 v4, v19, 7, v4
	s_and_b64 s[18:19], vcc, s[18:19]
	v_cndmask_b32_e64 v4, v4, 0, s[18:19]
	v_or_b32_e32 v26, v4, v0
.LBB2_110:                              ;   in Loop: Header=BB2_68 Depth=2
	s_or_b64 exec, exec, s[76:77]
                                        ; implicit-def: $vgpr0
.LBB2_111:                              ;   in Loop: Header=BB2_68 Depth=2
	s_andn2_saveexec_b64 s[18:19], s[74:75]
; %bb.112:                              ;   in Loop: Header=BB2_68 Depth=2
	v_or_b32_e32 v26, 0x7e, v0
; %bb.113:                              ;   in Loop: Header=BB2_68 Depth=2
	s_or_b64 exec, exec, s[18:19]
                                        ; implicit-def: $vgpr4
.LBB2_114:                              ;   in Loop: Header=BB2_68 Depth=2
	s_andn2_saveexec_b64 s[18:19], s[72:73]
; %bb.115:                              ;   in Loop: Header=BB2_68 Depth=2
	v_or_b32_sdwa v26, v4, s37 dst_sel:DWORD dst_unused:UNUSED_PAD src0_sel:BYTE_3 src1_sel:DWORD
; %bb.116:                              ;   in Loop: Header=BB2_68 Depth=2
	s_or_b64 exec, exec, s[18:19]
	v_and_b32_sdwa v19, v40, s35 dst_sel:DWORD dst_unused:UNUSED_PAD src0_sel:WORD_1 src1_sel:DWORD
	v_lshrrev_b32_e32 v0, 16, v40
	v_cmp_ne_u16_e32 vcc, 0, v19
	v_mov_b32_e32 v4, 0
	s_and_saveexec_b64 s[18:19], vcc
	s_cbranch_execz .LBB2_122
; %bb.117:                              ;   in Loop: Header=BB2_68 Depth=2
	v_cmp_ne_u16_e32 vcc, s36, v19
	v_bfrev_b32_e32 v4, 1
	s_and_saveexec_b64 s[72:73], vcc
	s_cbranch_execz .LBB2_121
; %bb.118:                              ;   in Loop: Header=BB2_68 Depth=2
	v_bfe_u32 v19, v40, 16, 7
	v_cmp_ne_u32_e32 vcc, s37, v19
	v_mov_b32_e32 v4, 0x7f800001
	s_and_saveexec_b64 s[74:75], vcc
	s_cbranch_execz .LBB2_120
; %bb.119:                              ;   in Loop: Header=BB2_68 Depth=2
	v_and_b32_e32 v4, 7, v0
	v_lshrrev_b32_e32 v23, 3, v19
	v_cmp_gt_u32_e32 vcc, 8, v19
	v_ffbh_u32_e32 v19, v4
	v_min_u32_e32 v24, 32, v19
	v_subrev_u32_e32 v19, 28, v24
	v_lshlrev_b64 v[19:20], v19, v[0:1]
	v_sub_u32_e32 v0, 29, v24
	v_and_b32_e32 v19, 7, v19
	v_cndmask_b32_e32 v0, v23, v0, vcc
	v_cndmask_b32_e32 v4, v4, v19, vcc
	v_lshlrev_b32_sdwa v19, v55, v40 dst_sel:DWORD dst_unused:UNUSED_PAD src0_sel:DWORD src1_sel:WORD_1
	v_lshlrev_b32_e32 v4, 20, v4
	v_and_b32_e32 v19, 0x80000000, v19
	v_lshl_add_u32 v0, v0, 23, v7
	v_or3_b32 v4, v19, v0, v4
.LBB2_120:                              ;   in Loop: Header=BB2_68 Depth=2
	s_or_b64 exec, exec, s[74:75]
.LBB2_121:                              ;   in Loop: Header=BB2_68 Depth=2
	s_or_b64 exec, exec, s[72:73]
.LBB2_122:                              ;   in Loop: Header=BB2_68 Depth=2
	s_or_b64 exec, exec, s[18:19]
	v_mul_f32_e32 v4, v62, v4
	v_and_b32_e32 v19, 0x7f800000, v4
	v_mov_b32_e32 v20, v41
	v_cmp_ne_u64_e32 vcc, s[46:47], v[19:20]
                                        ; implicit-def: $vgpr30
	s_and_saveexec_b64 s[18:19], vcc
	s_xor_b64 s[72:73], exec, s[18:19]
	s_cbranch_execz .LBB2_136
; %bb.123:                              ;   in Loop: Header=BB2_68 Depth=2
	v_and_b32_e32 v19, 0x7fffffff, v4
	v_mov_b32_e32 v20, v41
	v_cmp_gt_u64_e32 vcc, s[56:57], v[19:20]
	v_and_b32_sdwa v0, v4, s36 dst_sel:DWORD dst_unused:UNUSED_PAD src0_sel:BYTE_3 src1_sel:DWORD
                                        ; implicit-def: $vgpr30
	s_and_saveexec_b64 s[18:19], vcc
	s_xor_b64 s[74:75], exec, s[18:19]
	s_cbranch_execz .LBB2_133
; %bb.124:                              ;   in Loop: Header=BB2_68 Depth=2
	v_mov_b32_e32 v30, 0
	v_cmp_ne_u32_e32 vcc, 0, v4
	s_and_saveexec_b64 s[76:77], vcc
	s_cbranch_execz .LBB2_132
; %bb.125:                              ;   in Loop: Header=BB2_68 Depth=2
	v_and_b32_e32 v19, 0x7fffff, v4
	v_bfe_u32 v4, v4, 23, 8
	v_cmp_gt_u32_e64 s[18:19], s38, v4
	v_sub_u32_e32 v20, 0x79, v4
	v_cmp_eq_u32_e32 vcc, 0, v4
	v_cndmask_b32_e64 v20, 0, v20, s[18:19]
	v_or_b32_e32 v23, 0x800000, v19
	v_cndmask_b32_e32 v30, v20, v8, vcc
	v_cndmask_b32_e32 v19, v23, v19, vcc
	v_add_u32_e32 v23, 20, v30
	v_lshlrev_b64 v[23:24], v23, -1
	v_mov_b32_e32 v20, v41
	v_add_u32_e32 v27, 19, v30
	v_bfi_b32 v23, v23, 0, v19
	v_lshlrev_b64 v[27:28], v27, 1
	v_lshrrev_b64 v[19:20], v30, v[19:20]
	v_bfi_b32 v24, v24, 0, 0
	v_cmp_eq_u64_e64 s[18:19], v[23:24], v[27:28]
	v_mov_b32_e32 v28, v20
	v_mov_b32_e32 v27, v19
	s_and_saveexec_b64 s[78:79], s[18:19]
; %bb.126:                              ;   in Loop: Header=BB2_68 Depth=2
	v_bfe_u32 v20, v19, 20, 1
	v_add_co_u32_e64 v20, s[18:19], v19, v20
	v_add_co_u32_e64 v27, s[18:19], -1, v20
; %bb.127:                              ;   in Loop: Header=BB2_68 Depth=2
	s_or_b64 exec, exec, s[78:79]
	v_add_u32_e32 v4, 0xffffff81, v4
	v_cndmask_b32_e32 v4, v4, v54, vcc
	v_lshrrev_b32_e32 v20, 23, v19
	v_add3_u32 v24, v30, v4, v20
	v_add_u32_e32 v23, 6, v24
	v_and_b32_e32 v4, 0xfffff, v27
	v_add_u32_e32 v19, v4, v19
	v_mov_b32_e32 v20, v41
	v_cmp_ne_u32_e32 vcc, 0, v23
                                        ; implicit-def: $vgpr4
	s_and_saveexec_b64 s[18:19], vcc
	s_xor_b64 s[18:19], exec, s[18:19]
; %bb.128:                              ;   in Loop: Header=BB2_68 Depth=2
	v_cmp_lt_u64_e32 vcc, s[58:59], v[19:20]
	v_add_u32_e32 v4, 7, v24
	v_cndmask_b32_e32 v4, v23, v4, vcc
	v_cndmask_b32_e64 v23, 0, 1, vcc
	v_lshrrev_b64 v[19:20], v23, v[19:20]
; %bb.129:                              ;   in Loop: Header=BB2_68 Depth=2
	s_andn2_saveexec_b64 s[18:19], s[18:19]
; %bb.130:                              ;   in Loop: Header=BB2_68 Depth=2
	v_bfe_u32 v4, v19, 23, 1
; %bb.131:                              ;   in Loop: Header=BB2_68 Depth=2
	s_or_b64 exec, exec, s[18:19]
	v_lshrrev_b64 v[19:20], 20, v[19:20]
	v_cmp_gt_i32_e32 vcc, 16, v4
	v_cndmask_b32_e32 v20, 0, v20, vcc
	v_cndmask_b32_e32 v19, 7, v19, vcc
	v_cmp_eq_u32_e32 vcc, 0, v4
	v_min_i32_e32 v4, 15, v4
	v_cmp_eq_u64_e64 s[18:19], 0, v[19:20]
	v_lshlrev_b32_e32 v4, 3, v4
	v_and_b32_e32 v4, 0xf8, v4
	v_and_or_b32 v4, v19, 7, v4
	s_and_b64 s[18:19], vcc, s[18:19]
	v_cndmask_b32_e64 v4, v4, 0, s[18:19]
	v_or_b32_e32 v30, v4, v0
.LBB2_132:                              ;   in Loop: Header=BB2_68 Depth=2
	s_or_b64 exec, exec, s[76:77]
                                        ; implicit-def: $vgpr0
.LBB2_133:                              ;   in Loop: Header=BB2_68 Depth=2
	s_andn2_saveexec_b64 s[18:19], s[74:75]
; %bb.134:                              ;   in Loop: Header=BB2_68 Depth=2
	v_or_b32_e32 v30, 0x7e, v0
; %bb.135:                              ;   in Loop: Header=BB2_68 Depth=2
	s_or_b64 exec, exec, s[18:19]
                                        ; implicit-def: $vgpr4
.LBB2_136:                              ;   in Loop: Header=BB2_68 Depth=2
	s_andn2_saveexec_b64 s[18:19], s[72:73]
; %bb.137:                              ;   in Loop: Header=BB2_68 Depth=2
	v_or_b32_sdwa v30, v4, s37 dst_sel:DWORD dst_unused:UNUSED_PAD src0_sel:BYTE_3 src1_sel:DWORD
; %bb.138:                              ;   in Loop: Header=BB2_68 Depth=2
	s_or_b64 exec, exec, s[18:19]
	v_cmp_lt_u32_e32 vcc, s39, v40
	v_mov_b32_e32 v4, 0
	s_and_saveexec_b64 s[18:19], vcc
	s_cbranch_execz .LBB2_144
; %bb.139:                              ;   in Loop: Header=BB2_68 Depth=2
	v_lshrrev_b32_e32 v0, 24, v40
	v_cmp_ne_u32_sdwa s[74:75], v40, s36 src0_sel:BYTE_3 src1_sel:DWORD
	v_bfrev_b32_e32 v4, 1
	s_and_saveexec_b64 s[72:73], s[74:75]
	s_cbranch_execz .LBB2_143
; %bb.140:                              ;   in Loop: Header=BB2_68 Depth=2
	v_bfe_u32 v19, v40, 24, 7
	v_cmp_ne_u32_e32 vcc, s37, v19
	v_mov_b32_e32 v4, 0x7f800001
	s_and_saveexec_b64 s[74:75], vcc
	s_cbranch_execz .LBB2_142
; %bb.141:                              ;   in Loop: Header=BB2_68 Depth=2
	v_and_b32_e32 v4, 7, v0
	v_lshrrev_b32_e32 v23, 3, v19
	v_cmp_gt_u32_e32 vcc, 8, v19
	v_ffbh_u32_e32 v19, v4
	v_min_u32_e32 v24, 32, v19
	v_subrev_u32_e32 v19, 28, v24
	v_lshlrev_b64 v[19:20], v19, v[0:1]
	v_sub_u32_e32 v0, 29, v24
	v_and_b32_e32 v19, 7, v19
	v_cndmask_b32_e32 v0, v23, v0, vcc
	v_cndmask_b32_e32 v4, v4, v19, vcc
	v_lshlrev_b32_sdwa v19, v55, v40 dst_sel:DWORD dst_unused:UNUSED_PAD src0_sel:DWORD src1_sel:BYTE_3
	v_lshlrev_b32_e32 v4, 20, v4
	v_and_b32_e32 v19, 0x80000000, v19
	v_lshl_add_u32 v0, v0, 23, v7
	v_or3_b32 v4, v19, v0, v4
.LBB2_142:                              ;   in Loop: Header=BB2_68 Depth=2
	s_or_b64 exec, exec, s[74:75]
.LBB2_143:                              ;   in Loop: Header=BB2_68 Depth=2
	s_or_b64 exec, exec, s[72:73]
.LBB2_144:                              ;   in Loop: Header=BB2_68 Depth=2
	s_or_b64 exec, exec, s[18:19]
	v_mul_f32_e32 v19, v62, v4
	v_and_b32_e32 v40, 0x7f800000, v19
	v_cmp_ne_u64_e32 vcc, s[46:47], v[40:41]
                                        ; implicit-def: $vgpr4
	s_and_saveexec_b64 s[18:19], vcc
	s_xor_b64 s[72:73], exec, s[18:19]
	s_cbranch_execz .LBB2_158
; %bb.145:                              ;   in Loop: Header=BB2_68 Depth=2
	v_and_b32_e32 v40, 0x7fffffff, v19
	v_cmp_gt_u64_e32 vcc, s[56:57], v[40:41]
	v_and_b32_sdwa v0, v19, s36 dst_sel:DWORD dst_unused:UNUSED_PAD src0_sel:BYTE_3 src1_sel:DWORD
                                        ; implicit-def: $vgpr4
	s_and_saveexec_b64 s[18:19], vcc
	s_xor_b64 s[74:75], exec, s[18:19]
	s_cbranch_execz .LBB2_155
; %bb.146:                              ;   in Loop: Header=BB2_68 Depth=2
	v_mov_b32_e32 v4, 0
	v_cmp_ne_u32_e32 vcc, 0, v19
	s_and_saveexec_b64 s[76:77], vcc
	s_cbranch_execz .LBB2_154
; %bb.147:                              ;   in Loop: Header=BB2_68 Depth=2
	v_bfe_u32 v4, v19, 23, 8
	v_and_b32_e32 v20, 0x7fffff, v19
	v_cmp_gt_u32_e64 s[18:19], s38, v4
	v_sub_u32_e32 v19, 0x79, v4
	v_cmp_eq_u32_e32 vcc, 0, v4
	v_cndmask_b32_e64 v19, 0, v19, s[18:19]
	v_cndmask_b32_e32 v33, v19, v8, vcc
	v_or_b32_e32 v23, 0x800000, v20
	v_add_u32_e32 v19, 20, v33
	v_cndmask_b32_e32 v40, v23, v20, vcc
	v_lshlrev_b64 v[19:20], v19, -1
	v_add_u32_e32 v23, 19, v33
	v_lshlrev_b64 v[23:24], v23, 1
	v_bfi_b32 v20, v20, 0, 0
	v_bfi_b32 v19, v19, 0, v40
	v_cmp_eq_u64_e64 s[18:19], v[19:20], v[23:24]
	v_lshrrev_b64 v[19:20], v33, v[40:41]
	v_mov_b32_e32 v28, v20
	v_mov_b32_e32 v27, v19
	s_and_saveexec_b64 s[78:79], s[18:19]
; %bb.148:                              ;   in Loop: Header=BB2_68 Depth=2
	v_bfe_u32 v20, v19, 20, 1
	v_add_co_u32_e64 v20, s[18:19], v19, v20
	v_add_co_u32_e64 v27, s[18:19], -1, v20
; %bb.149:                              ;   in Loop: Header=BB2_68 Depth=2
	s_or_b64 exec, exec, s[78:79]
	v_add_u32_e32 v4, 0xffffff81, v4
	v_cndmask_b32_e32 v4, v4, v54, vcc
	v_lshrrev_b32_e32 v20, 23, v19
	v_add3_u32 v24, v33, v4, v20
	v_add_u32_e32 v23, 6, v24
	v_and_b32_e32 v4, 0xfffff, v27
	v_add_u32_e32 v40, v4, v19
	v_cmp_ne_u32_e32 vcc, 0, v23
                                        ; implicit-def: $vgpr19_vgpr20
                                        ; implicit-def: $vgpr4
	s_and_saveexec_b64 s[18:19], vcc
	s_xor_b64 s[18:19], exec, s[18:19]
; %bb.150:                              ;   in Loop: Header=BB2_68 Depth=2
	v_cmp_lt_u64_e32 vcc, s[58:59], v[40:41]
	v_add_u32_e32 v4, 7, v24
	v_cndmask_b32_e64 v19, 0, 1, vcc
	v_cndmask_b32_e32 v4, v23, v4, vcc
	v_lshrrev_b64 v[19:20], v19, v[40:41]
; %bb.151:                              ;   in Loop: Header=BB2_68 Depth=2
	s_andn2_saveexec_b64 s[18:19], s[18:19]
; %bb.152:                              ;   in Loop: Header=BB2_68 Depth=2
	v_mov_b32_e32 v19, v40
	v_bfe_u32 v4, v40, 23, 1
	v_mov_b32_e32 v20, v41
; %bb.153:                              ;   in Loop: Header=BB2_68 Depth=2
	s_or_b64 exec, exec, s[18:19]
	v_lshrrev_b64 v[19:20], 20, v[19:20]
	v_cmp_gt_i32_e32 vcc, 16, v4
	v_cndmask_b32_e32 v20, 0, v20, vcc
	v_cndmask_b32_e32 v19, 7, v19, vcc
	v_cmp_eq_u32_e32 vcc, 0, v4
	v_min_i32_e32 v4, 15, v4
	v_cmp_eq_u64_e64 s[18:19], 0, v[19:20]
	v_lshlrev_b32_e32 v4, 3, v4
	v_and_b32_e32 v4, 0xf8, v4
	v_and_or_b32 v4, v19, 7, v4
	s_and_b64 s[18:19], vcc, s[18:19]
	v_cndmask_b32_e64 v4, v4, 0, s[18:19]
	v_or_b32_e32 v4, v4, v0
.LBB2_154:                              ;   in Loop: Header=BB2_68 Depth=2
	s_or_b64 exec, exec, s[76:77]
                                        ; implicit-def: $vgpr0
.LBB2_155:                              ;   in Loop: Header=BB2_68 Depth=2
	s_andn2_saveexec_b64 s[18:19], s[74:75]
; %bb.156:                              ;   in Loop: Header=BB2_68 Depth=2
	v_or_b32_e32 v4, 0x7e, v0
; %bb.157:                              ;   in Loop: Header=BB2_68 Depth=2
	s_or_b64 exec, exec, s[18:19]
                                        ; implicit-def: $vgpr19
.LBB2_158:                              ;   in Loop: Header=BB2_68 Depth=2
	s_andn2_saveexec_b64 s[18:19], s[72:73]
; %bb.159:                              ;   in Loop: Header=BB2_68 Depth=2
	v_or_b32_sdwa v4, v19, s37 dst_sel:DWORD dst_unused:UNUSED_PAD src0_sel:BYTE_3 src1_sel:DWORD
; %bb.160:                              ;   in Loop: Header=BB2_68 Depth=2
	s_or_b64 exec, exec, s[18:19]
	v_alignbit_b32 v40, v31, v32, v10
	v_cmp_ne_u16_sdwa s[72:73], v40, v41 src0_sel:BYTE_0 src1_sel:DWORD
	v_mov_b32_e32 v0, 0
	s_and_saveexec_b64 s[18:19], s[72:73]
	s_cbranch_execz .LBB2_166
; %bb.161:                              ;   in Loop: Header=BB2_68 Depth=2
	v_cmp_ne_u16_sdwa s[74:75], v40, s36 src0_sel:BYTE_0 src1_sel:DWORD
	v_bfrev_b32_e32 v0, 1
	s_and_saveexec_b64 s[72:73], s[74:75]
	s_cbranch_execz .LBB2_165
; %bb.162:                              ;   in Loop: Header=BB2_68 Depth=2
	v_and_b32_e32 v19, 0x7f, v40
	v_cmp_ne_u32_e32 vcc, s37, v19
	v_mov_b32_e32 v0, 0x7f800001
	s_and_saveexec_b64 s[74:75], vcc
	s_cbranch_execz .LBB2_164
; %bb.163:                              ;   in Loop: Header=BB2_68 Depth=2
	v_and_b32_e32 v0, 7, v40
	v_ffbh_u32_e32 v0, v0
	v_min_u32_e32 v0, 32, v0
	v_lshrrev_b32_e32 v20, 3, v19
	v_cmp_gt_u32_e32 vcc, 8, v19
	v_subrev_u32_e32 v19, 28, v0
	v_sub_u32_e32 v0, 29, v0
	v_cndmask_b32_e32 v19, 0, v19, vcc
	v_cndmask_b32_e32 v0, v20, v0, vcc
	v_lshlrev_b64 v[19:20], v19, v[40:41]
	v_lshlrev_b32_e32 v20, 24, v40
	v_lshlrev_b32_e32 v19, 20, v19
	v_and_b32_e32 v19, 0x700000, v19
	v_and_b32_e32 v20, 0x80000000, v20
	v_lshl_add_u32 v0, v0, 23, v7
	v_or3_b32 v0, v20, v0, v19
.LBB2_164:                              ;   in Loop: Header=BB2_68 Depth=2
	s_or_b64 exec, exec, s[74:75]
.LBB2_165:                              ;   in Loop: Header=BB2_68 Depth=2
	s_or_b64 exec, exec, s[72:73]
.LBB2_166:                              ;   in Loop: Header=BB2_68 Depth=2
	s_or_b64 exec, exec, s[18:19]
	v_mul_f32_e32 v19, v62, v0
	v_and_b32_e32 v23, 0x7f800000, v19
	v_mov_b32_e32 v24, v41
	v_cmp_ne_u64_e32 vcc, s[46:47], v[23:24]
                                        ; implicit-def: $vgpr31
	s_and_saveexec_b64 s[18:19], vcc
	s_xor_b64 s[72:73], exec, s[18:19]
	s_cbranch_execz .LBB2_180
; %bb.167:                              ;   in Loop: Header=BB2_68 Depth=2
	v_and_b32_e32 v23, 0x7fffffff, v19
	v_mov_b32_e32 v24, v41
	v_cmp_gt_u64_e32 vcc, s[56:57], v[23:24]
	v_and_b32_sdwa v0, v19, s36 dst_sel:DWORD dst_unused:UNUSED_PAD src0_sel:BYTE_3 src1_sel:DWORD
                                        ; implicit-def: $vgpr31
	s_and_saveexec_b64 s[18:19], vcc
	s_xor_b64 s[74:75], exec, s[18:19]
	s_cbranch_execz .LBB2_177
; %bb.168:                              ;   in Loop: Header=BB2_68 Depth=2
	v_mov_b32_e32 v31, 0
	v_cmp_ne_u32_e32 vcc, 0, v19
	s_and_saveexec_b64 s[76:77], vcc
	s_cbranch_execz .LBB2_176
; %bb.169:                              ;   in Loop: Header=BB2_68 Depth=2
	v_bfe_u32 v31, v19, 23, 8
	v_and_b32_e32 v20, 0x7fffff, v19
	v_cmp_gt_u32_e64 s[18:19], s38, v31
	v_sub_u32_e32 v19, 0x79, v31
	v_cmp_eq_u32_e32 vcc, 0, v31
	v_cndmask_b32_e64 v19, 0, v19, s[18:19]
	v_or_b32_e32 v23, 0x800000, v20
	v_cndmask_b32_e32 v32, v19, v8, vcc
	v_cndmask_b32_e32 v19, v23, v20, vcc
	v_add_u32_e32 v23, 20, v32
	v_lshlrev_b64 v[23:24], v23, -1
	v_mov_b32_e32 v20, v41
	v_add_u32_e32 v27, 19, v32
	v_bfi_b32 v23, v23, 0, v19
	v_lshlrev_b64 v[27:28], v27, 1
	v_lshrrev_b64 v[19:20], v32, v[19:20]
	v_bfi_b32 v24, v24, 0, 0
	v_cmp_eq_u64_e64 s[18:19], v[23:24], v[27:28]
	v_mov_b32_e32 v28, v20
	v_mov_b32_e32 v27, v19
	s_and_saveexec_b64 s[78:79], s[18:19]
; %bb.170:                              ;   in Loop: Header=BB2_68 Depth=2
	v_bfe_u32 v20, v19, 20, 1
	v_add_co_u32_e64 v20, s[18:19], v19, v20
	v_add_co_u32_e64 v27, s[18:19], -1, v20
; %bb.171:                              ;   in Loop: Header=BB2_68 Depth=2
	s_or_b64 exec, exec, s[78:79]
	v_add_u32_e32 v20, 0xffffff81, v31
	v_cndmask_b32_e32 v20, v20, v54, vcc
	v_lshrrev_b32_e32 v23, 23, v19
	v_add3_u32 v24, v32, v20, v23
	v_add_u32_e32 v23, 6, v24
	v_and_b32_e32 v20, 0xfffff, v27
	v_add_u32_e32 v19, v20, v19
	v_mov_b32_e32 v20, v41
	v_cmp_ne_u32_e32 vcc, 0, v23
                                        ; implicit-def: $vgpr27
	s_and_saveexec_b64 s[18:19], vcc
	s_xor_b64 s[18:19], exec, s[18:19]
; %bb.172:                              ;   in Loop: Header=BB2_68 Depth=2
	v_cmp_lt_u64_e32 vcc, s[58:59], v[19:20]
	v_add_u32_e32 v24, 7, v24
	v_cndmask_b32_e32 v27, v23, v24, vcc
	v_cndmask_b32_e64 v23, 0, 1, vcc
	v_lshrrev_b64 v[19:20], v23, v[19:20]
; %bb.173:                              ;   in Loop: Header=BB2_68 Depth=2
	s_andn2_saveexec_b64 s[18:19], s[18:19]
; %bb.174:                              ;   in Loop: Header=BB2_68 Depth=2
	v_bfe_u32 v27, v19, 23, 1
; %bb.175:                              ;   in Loop: Header=BB2_68 Depth=2
	s_or_b64 exec, exec, s[18:19]
	v_lshrrev_b64 v[19:20], 20, v[19:20]
	v_cmp_gt_i32_e32 vcc, 16, v27
	v_cndmask_b32_e32 v20, 0, v20, vcc
	v_cndmask_b32_e32 v19, 7, v19, vcc
	v_cmp_eq_u64_e64 s[18:19], 0, v[19:20]
	v_min_i32_e32 v20, 15, v27
	v_lshlrev_b32_e32 v20, 3, v20
	v_cmp_eq_u32_e32 vcc, 0, v27
	v_and_b32_e32 v20, 0xf8, v20
	v_and_or_b32 v19, v19, 7, v20
	s_and_b64 s[18:19], vcc, s[18:19]
	v_cndmask_b32_e64 v19, v19, 0, s[18:19]
	v_or_b32_e32 v31, v19, v0
.LBB2_176:                              ;   in Loop: Header=BB2_68 Depth=2
	s_or_b64 exec, exec, s[76:77]
                                        ; implicit-def: $vgpr0
.LBB2_177:                              ;   in Loop: Header=BB2_68 Depth=2
	s_andn2_saveexec_b64 s[18:19], s[74:75]
; %bb.178:                              ;   in Loop: Header=BB2_68 Depth=2
	v_or_b32_e32 v31, 0x7e, v0
; %bb.179:                              ;   in Loop: Header=BB2_68 Depth=2
	s_or_b64 exec, exec, s[18:19]
                                        ; implicit-def: $vgpr19
.LBB2_180:                              ;   in Loop: Header=BB2_68 Depth=2
	s_andn2_saveexec_b64 s[18:19], s[72:73]
; %bb.181:                              ;   in Loop: Header=BB2_68 Depth=2
	v_or_b32_sdwa v31, v19, s37 dst_sel:DWORD dst_unused:UNUSED_PAD src0_sel:BYTE_3 src1_sel:DWORD
; %bb.182:                              ;   in Loop: Header=BB2_68 Depth=2
	s_or_b64 exec, exec, s[18:19]
	v_lshrrev_b16_e32 v0, 8, v40
	v_cmp_ne_u16_e32 vcc, 0, v0
	v_mov_b32_e32 v19, 0
	s_and_saveexec_b64 s[18:19], vcc
	s_cbranch_execz .LBB2_188
; %bb.183:                              ;   in Loop: Header=BB2_68 Depth=2
	v_cmp_ne_u16_e32 vcc, s36, v0
	v_bfrev_b32_e32 v19, 1
	s_and_saveexec_b64 s[72:73], vcc
	s_cbranch_execz .LBB2_187
; %bb.184:                              ;   in Loop: Header=BB2_68 Depth=2
	v_and_b32_e32 v20, 0x7f, v0
	v_cmp_ne_u32_e32 vcc, s37, v20
	v_mov_b32_e32 v19, 0x7f800001
	s_and_saveexec_b64 s[74:75], vcc
	s_cbranch_execz .LBB2_186
; %bb.185:                              ;   in Loop: Header=BB2_68 Depth=2
	v_and_b32_e32 v23, 7, v0
	v_ffbh_u32_e32 v19, v23
	v_min_u32_e32 v27, 32, v19
	v_subrev_u32_e32 v19, 28, v27
	v_lshrrev_b32_e32 v24, 3, v20
	v_cmp_gt_u32_e32 vcc, 8, v20
	v_lshlrev_b64 v[19:20], v19, v[0:1]
	v_sub_u32_e32 v0, 29, v27
	v_and_b32_e32 v19, 7, v19
	v_cndmask_b32_e32 v0, v24, v0, vcc
	v_cndmask_b32_e32 v19, v23, v19, vcc
	v_lshlrev_b32_e32 v20, 16, v40
	v_lshlrev_b32_e32 v19, 20, v19
	v_and_b32_e32 v20, 0x80000000, v20
	v_lshl_add_u32 v0, v0, 23, v7
	v_or3_b32 v19, v20, v0, v19
.LBB2_186:                              ;   in Loop: Header=BB2_68 Depth=2
	s_or_b64 exec, exec, s[74:75]
.LBB2_187:                              ;   in Loop: Header=BB2_68 Depth=2
	s_or_b64 exec, exec, s[72:73]
.LBB2_188:                              ;   in Loop: Header=BB2_68 Depth=2
	s_or_b64 exec, exec, s[18:19]
	v_mul_f32_e32 v19, v62, v19
	v_and_b32_e32 v23, 0x7f800000, v19
	v_mov_b32_e32 v24, v41
	v_cmp_ne_u64_e32 vcc, s[46:47], v[23:24]
                                        ; implicit-def: $vgpr32
	s_and_saveexec_b64 s[18:19], vcc
	s_xor_b64 s[72:73], exec, s[18:19]
	s_cbranch_execz .LBB2_202
; %bb.189:                              ;   in Loop: Header=BB2_68 Depth=2
	v_and_b32_e32 v23, 0x7fffffff, v19
	v_mov_b32_e32 v24, v41
	v_cmp_gt_u64_e32 vcc, s[56:57], v[23:24]
	v_and_b32_sdwa v0, v19, s36 dst_sel:DWORD dst_unused:UNUSED_PAD src0_sel:BYTE_3 src1_sel:DWORD
                                        ; implicit-def: $vgpr32
	s_and_saveexec_b64 s[18:19], vcc
	s_xor_b64 s[74:75], exec, s[18:19]
	s_cbranch_execz .LBB2_199
; %bb.190:                              ;   in Loop: Header=BB2_68 Depth=2
	v_mov_b32_e32 v32, 0
	v_cmp_ne_u32_e32 vcc, 0, v19
	s_and_saveexec_b64 s[76:77], vcc
	s_cbranch_execz .LBB2_198
; %bb.191:                              ;   in Loop: Header=BB2_68 Depth=2
	v_bfe_u32 v32, v19, 23, 8
	v_and_b32_e32 v20, 0x7fffff, v19
	v_cmp_gt_u32_e64 s[18:19], s38, v32
	v_sub_u32_e32 v19, 0x79, v32
	v_cmp_eq_u32_e32 vcc, 0, v32
	v_cndmask_b32_e64 v19, 0, v19, s[18:19]
	v_or_b32_e32 v23, 0x800000, v20
	v_cndmask_b32_e32 v33, v19, v8, vcc
	v_cndmask_b32_e32 v19, v23, v20, vcc
	v_add_u32_e32 v23, 20, v33
	v_lshlrev_b64 v[23:24], v23, -1
	v_mov_b32_e32 v20, v41
	v_add_u32_e32 v27, 19, v33
	v_bfi_b32 v23, v23, 0, v19
	v_lshlrev_b64 v[27:28], v27, 1
	v_lshrrev_b64 v[19:20], v33, v[19:20]
	v_bfi_b32 v24, v24, 0, 0
	v_cmp_eq_u64_e64 s[18:19], v[23:24], v[27:28]
	v_mov_b32_e32 v28, v20
	v_mov_b32_e32 v27, v19
	s_and_saveexec_b64 s[78:79], s[18:19]
; %bb.192:                              ;   in Loop: Header=BB2_68 Depth=2
	v_bfe_u32 v20, v19, 20, 1
	v_add_co_u32_e64 v20, s[18:19], v19, v20
	v_add_co_u32_e64 v27, s[18:19], -1, v20
; %bb.193:                              ;   in Loop: Header=BB2_68 Depth=2
	s_or_b64 exec, exec, s[78:79]
	v_add_u32_e32 v20, 0xffffff81, v32
	v_cndmask_b32_e32 v20, v20, v54, vcc
	v_lshrrev_b32_e32 v23, 23, v19
	v_add3_u32 v24, v33, v20, v23
	v_add_u32_e32 v23, 6, v24
	v_and_b32_e32 v20, 0xfffff, v27
	v_add_u32_e32 v19, v20, v19
	v_mov_b32_e32 v20, v41
	v_cmp_ne_u32_e32 vcc, 0, v23
                                        ; implicit-def: $vgpr27
	s_and_saveexec_b64 s[18:19], vcc
	s_xor_b64 s[18:19], exec, s[18:19]
; %bb.194:                              ;   in Loop: Header=BB2_68 Depth=2
	v_cmp_lt_u64_e32 vcc, s[58:59], v[19:20]
	v_add_u32_e32 v24, 7, v24
	v_cndmask_b32_e32 v27, v23, v24, vcc
	v_cndmask_b32_e64 v23, 0, 1, vcc
	v_lshrrev_b64 v[19:20], v23, v[19:20]
; %bb.195:                              ;   in Loop: Header=BB2_68 Depth=2
	s_andn2_saveexec_b64 s[18:19], s[18:19]
; %bb.196:                              ;   in Loop: Header=BB2_68 Depth=2
	v_bfe_u32 v27, v19, 23, 1
; %bb.197:                              ;   in Loop: Header=BB2_68 Depth=2
	s_or_b64 exec, exec, s[18:19]
	v_lshrrev_b64 v[19:20], 20, v[19:20]
	v_cmp_gt_i32_e32 vcc, 16, v27
	v_cndmask_b32_e32 v20, 0, v20, vcc
	v_cndmask_b32_e32 v19, 7, v19, vcc
	v_cmp_eq_u64_e64 s[18:19], 0, v[19:20]
	v_min_i32_e32 v20, 15, v27
	v_lshlrev_b32_e32 v20, 3, v20
	v_cmp_eq_u32_e32 vcc, 0, v27
	v_and_b32_e32 v20, 0xf8, v20
	v_and_or_b32 v19, v19, 7, v20
	s_and_b64 s[18:19], vcc, s[18:19]
	v_cndmask_b32_e64 v19, v19, 0, s[18:19]
	v_or_b32_e32 v32, v19, v0
.LBB2_198:                              ;   in Loop: Header=BB2_68 Depth=2
	s_or_b64 exec, exec, s[76:77]
                                        ; implicit-def: $vgpr0
.LBB2_199:                              ;   in Loop: Header=BB2_68 Depth=2
	s_andn2_saveexec_b64 s[18:19], s[74:75]
; %bb.200:                              ;   in Loop: Header=BB2_68 Depth=2
	v_or_b32_e32 v32, 0x7e, v0
; %bb.201:                              ;   in Loop: Header=BB2_68 Depth=2
	s_or_b64 exec, exec, s[18:19]
                                        ; implicit-def: $vgpr19
.LBB2_202:                              ;   in Loop: Header=BB2_68 Depth=2
	s_andn2_saveexec_b64 s[18:19], s[72:73]
; %bb.203:                              ;   in Loop: Header=BB2_68 Depth=2
	v_or_b32_sdwa v32, v19, s37 dst_sel:DWORD dst_unused:UNUSED_PAD src0_sel:BYTE_3 src1_sel:DWORD
; %bb.204:                              ;   in Loop: Header=BB2_68 Depth=2
	s_or_b64 exec, exec, s[18:19]
	v_and_b32_sdwa v20, v40, s35 dst_sel:DWORD dst_unused:UNUSED_PAD src0_sel:WORD_1 src1_sel:DWORD
	v_lshrrev_b32_e32 v0, 16, v40
	v_cmp_ne_u16_e32 vcc, 0, v20
	v_mov_b32_e32 v19, 0
	s_and_saveexec_b64 s[18:19], vcc
	s_cbranch_execz .LBB2_210
; %bb.205:                              ;   in Loop: Header=BB2_68 Depth=2
	v_cmp_ne_u16_e32 vcc, s36, v20
	v_bfrev_b32_e32 v19, 1
	s_and_saveexec_b64 s[72:73], vcc
	s_cbranch_execz .LBB2_209
; %bb.206:                              ;   in Loop: Header=BB2_68 Depth=2
	v_bfe_u32 v20, v40, 16, 7
	v_cmp_ne_u32_e32 vcc, s37, v20
	v_mov_b32_e32 v19, 0x7f800001
	s_and_saveexec_b64 s[74:75], vcc
	s_cbranch_execz .LBB2_208
; %bb.207:                              ;   in Loop: Header=BB2_68 Depth=2
	v_and_b32_e32 v23, 7, v0
	v_ffbh_u32_e32 v19, v23
	v_min_u32_e32 v27, 32, v19
	v_subrev_u32_e32 v19, 28, v27
	v_lshrrev_b32_e32 v24, 3, v20
	v_cmp_gt_u32_e32 vcc, 8, v20
	v_lshlrev_b64 v[19:20], v19, v[0:1]
	v_sub_u32_e32 v0, 29, v27
	v_and_b32_e32 v19, 7, v19
	v_cndmask_b32_e32 v0, v24, v0, vcc
	v_cndmask_b32_e32 v19, v23, v19, vcc
	v_lshlrev_b32_sdwa v20, v55, v40 dst_sel:DWORD dst_unused:UNUSED_PAD src0_sel:DWORD src1_sel:WORD_1
	v_lshlrev_b32_e32 v19, 20, v19
	v_and_b32_e32 v20, 0x80000000, v20
	v_lshl_add_u32 v0, v0, 23, v7
	v_or3_b32 v19, v20, v0, v19
.LBB2_208:                              ;   in Loop: Header=BB2_68 Depth=2
	s_or_b64 exec, exec, s[74:75]
.LBB2_209:                              ;   in Loop: Header=BB2_68 Depth=2
	s_or_b64 exec, exec, s[72:73]
.LBB2_210:                              ;   in Loop: Header=BB2_68 Depth=2
	s_or_b64 exec, exec, s[18:19]
	v_mul_f32_e32 v19, v62, v19
	v_and_b32_e32 v23, 0x7f800000, v19
	v_mov_b32_e32 v24, v41
	v_cmp_ne_u64_e32 vcc, s[46:47], v[23:24]
                                        ; implicit-def: $vgpr33
	s_and_saveexec_b64 s[18:19], vcc
	s_xor_b64 s[72:73], exec, s[18:19]
	s_cbranch_execz .LBB2_224
; %bb.211:                              ;   in Loop: Header=BB2_68 Depth=2
	v_and_b32_e32 v23, 0x7fffffff, v19
	v_mov_b32_e32 v24, v41
	v_cmp_gt_u64_e32 vcc, s[56:57], v[23:24]
	v_and_b32_sdwa v0, v19, s36 dst_sel:DWORD dst_unused:UNUSED_PAD src0_sel:BYTE_3 src1_sel:DWORD
                                        ; implicit-def: $vgpr33
	s_and_saveexec_b64 s[18:19], vcc
	s_xor_b64 s[74:75], exec, s[18:19]
	s_cbranch_execz .LBB2_221
; %bb.212:                              ;   in Loop: Header=BB2_68 Depth=2
	v_mov_b32_e32 v33, 0
	v_cmp_ne_u32_e32 vcc, 0, v19
	s_and_saveexec_b64 s[76:77], vcc
	s_cbranch_execz .LBB2_220
; %bb.213:                              ;   in Loop: Header=BB2_68 Depth=2
	v_bfe_u32 v33, v19, 23, 8
	v_and_b32_e32 v20, 0x7fffff, v19
	v_cmp_gt_u32_e64 s[18:19], s38, v33
	v_sub_u32_e32 v19, 0x79, v33
	v_cmp_eq_u32_e32 vcc, 0, v33
	v_cndmask_b32_e64 v19, 0, v19, s[18:19]
	v_or_b32_e32 v23, 0x800000, v20
	v_cndmask_b32_e32 v49, v19, v8, vcc
	v_cndmask_b32_e32 v19, v23, v20, vcc
	v_add_u32_e32 v23, 20, v49
	v_lshlrev_b64 v[23:24], v23, -1
	v_mov_b32_e32 v20, v41
	v_add_u32_e32 v27, 19, v49
	v_bfi_b32 v23, v23, 0, v19
	v_lshlrev_b64 v[27:28], v27, 1
	v_lshrrev_b64 v[19:20], v49, v[19:20]
	v_bfi_b32 v24, v24, 0, 0
	v_cmp_eq_u64_e64 s[18:19], v[23:24], v[27:28]
	v_mov_b32_e32 v28, v20
	v_mov_b32_e32 v27, v19
	s_and_saveexec_b64 s[78:79], s[18:19]
; %bb.214:                              ;   in Loop: Header=BB2_68 Depth=2
	v_bfe_u32 v20, v19, 20, 1
	v_add_co_u32_e64 v20, s[18:19], v19, v20
	v_add_co_u32_e64 v27, s[18:19], -1, v20
; %bb.215:                              ;   in Loop: Header=BB2_68 Depth=2
	s_or_b64 exec, exec, s[78:79]
	v_add_u32_e32 v20, 0xffffff81, v33
	v_cndmask_b32_e32 v20, v20, v54, vcc
	v_lshrrev_b32_e32 v23, 23, v19
	v_add3_u32 v24, v49, v20, v23
	v_add_u32_e32 v23, 6, v24
	v_and_b32_e32 v20, 0xfffff, v27
	v_add_u32_e32 v19, v20, v19
	v_mov_b32_e32 v20, v41
	v_cmp_ne_u32_e32 vcc, 0, v23
                                        ; implicit-def: $vgpr27
	s_and_saveexec_b64 s[18:19], vcc
	s_xor_b64 s[18:19], exec, s[18:19]
; %bb.216:                              ;   in Loop: Header=BB2_68 Depth=2
	v_cmp_lt_u64_e32 vcc, s[58:59], v[19:20]
	v_add_u32_e32 v24, 7, v24
	v_cndmask_b32_e32 v27, v23, v24, vcc
	v_cndmask_b32_e64 v23, 0, 1, vcc
	v_lshrrev_b64 v[19:20], v23, v[19:20]
; %bb.217:                              ;   in Loop: Header=BB2_68 Depth=2
	s_andn2_saveexec_b64 s[18:19], s[18:19]
; %bb.218:                              ;   in Loop: Header=BB2_68 Depth=2
	v_bfe_u32 v27, v19, 23, 1
; %bb.219:                              ;   in Loop: Header=BB2_68 Depth=2
	s_or_b64 exec, exec, s[18:19]
	v_lshrrev_b64 v[19:20], 20, v[19:20]
	v_cmp_gt_i32_e32 vcc, 16, v27
	v_cndmask_b32_e32 v20, 0, v20, vcc
	v_cndmask_b32_e32 v19, 7, v19, vcc
	v_cmp_eq_u64_e64 s[18:19], 0, v[19:20]
	v_min_i32_e32 v20, 15, v27
	v_lshlrev_b32_e32 v20, 3, v20
	v_cmp_eq_u32_e32 vcc, 0, v27
	v_and_b32_e32 v20, 0xf8, v20
	v_and_or_b32 v19, v19, 7, v20
	s_and_b64 s[18:19], vcc, s[18:19]
	v_cndmask_b32_e64 v19, v19, 0, s[18:19]
	v_or_b32_e32 v33, v19, v0
.LBB2_220:                              ;   in Loop: Header=BB2_68 Depth=2
	s_or_b64 exec, exec, s[76:77]
                                        ; implicit-def: $vgpr0
.LBB2_221:                              ;   in Loop: Header=BB2_68 Depth=2
	s_andn2_saveexec_b64 s[18:19], s[74:75]
; %bb.222:                              ;   in Loop: Header=BB2_68 Depth=2
	v_or_b32_e32 v33, 0x7e, v0
; %bb.223:                              ;   in Loop: Header=BB2_68 Depth=2
	s_or_b64 exec, exec, s[18:19]
                                        ; implicit-def: $vgpr19
.LBB2_224:                              ;   in Loop: Header=BB2_68 Depth=2
	s_andn2_saveexec_b64 s[18:19], s[72:73]
; %bb.225:                              ;   in Loop: Header=BB2_68 Depth=2
	v_or_b32_sdwa v33, v19, s37 dst_sel:DWORD dst_unused:UNUSED_PAD src0_sel:BYTE_3 src1_sel:DWORD
; %bb.226:                              ;   in Loop: Header=BB2_68 Depth=2
	s_or_b64 exec, exec, s[18:19]
	v_cmp_lt_u32_e32 vcc, s39, v40
	v_mov_b32_e32 v19, 0
	s_and_saveexec_b64 s[18:19], vcc
	s_cbranch_execz .LBB2_232
; %bb.227:                              ;   in Loop: Header=BB2_68 Depth=2
	v_lshrrev_b32_e32 v0, 24, v40
	v_cmp_ne_u32_sdwa s[74:75], v40, s36 src0_sel:BYTE_3 src1_sel:DWORD
	v_bfrev_b32_e32 v19, 1
	s_and_saveexec_b64 s[72:73], s[74:75]
	s_cbranch_execz .LBB2_231
; %bb.228:                              ;   in Loop: Header=BB2_68 Depth=2
	v_bfe_u32 v20, v40, 24, 7
	v_cmp_ne_u32_e32 vcc, s37, v20
	v_mov_b32_e32 v19, 0x7f800001
	s_and_saveexec_b64 s[74:75], vcc
	s_cbranch_execz .LBB2_230
; %bb.229:                              ;   in Loop: Header=BB2_68 Depth=2
	v_and_b32_e32 v23, 7, v0
	v_ffbh_u32_e32 v19, v23
	v_min_u32_e32 v27, 32, v19
	v_subrev_u32_e32 v19, 28, v27
	v_lshrrev_b32_e32 v24, 3, v20
	v_cmp_gt_u32_e32 vcc, 8, v20
	v_lshlrev_b64 v[19:20], v19, v[0:1]
	v_sub_u32_e32 v0, 29, v27
	v_and_b32_e32 v19, 7, v19
	v_cndmask_b32_e32 v0, v24, v0, vcc
	v_cndmask_b32_e32 v19, v23, v19, vcc
	v_lshlrev_b32_sdwa v20, v55, v40 dst_sel:DWORD dst_unused:UNUSED_PAD src0_sel:DWORD src1_sel:BYTE_3
	v_lshlrev_b32_e32 v19, 20, v19
	v_and_b32_e32 v20, 0x80000000, v20
	v_lshl_add_u32 v0, v0, 23, v7
	v_or3_b32 v19, v20, v0, v19
.LBB2_230:                              ;   in Loop: Header=BB2_68 Depth=2
	s_or_b64 exec, exec, s[74:75]
.LBB2_231:                              ;   in Loop: Header=BB2_68 Depth=2
	s_or_b64 exec, exec, s[72:73]
.LBB2_232:                              ;   in Loop: Header=BB2_68 Depth=2
	s_or_b64 exec, exec, s[18:19]
	v_mul_f32_e32 v20, v62, v19
	v_and_b32_e32 v40, 0x7f800000, v20
	v_cmp_ne_u64_e32 vcc, s[46:47], v[40:41]
                                        ; implicit-def: $vgpr19
	s_and_saveexec_b64 s[18:19], vcc
	s_xor_b64 s[72:73], exec, s[18:19]
	s_cbranch_execz .LBB2_246
; %bb.233:                              ;   in Loop: Header=BB2_68 Depth=2
	v_and_b32_e32 v40, 0x7fffffff, v20
	v_cmp_gt_u64_e32 vcc, s[56:57], v[40:41]
	v_and_b32_sdwa v0, v20, s36 dst_sel:DWORD dst_unused:UNUSED_PAD src0_sel:BYTE_3 src1_sel:DWORD
                                        ; implicit-def: $vgpr19
	s_and_saveexec_b64 s[18:19], vcc
	s_xor_b64 s[74:75], exec, s[18:19]
	s_cbranch_execz .LBB2_243
; %bb.234:                              ;   in Loop: Header=BB2_68 Depth=2
	v_mov_b32_e32 v19, 0
	v_cmp_ne_u32_e32 vcc, 0, v20
	s_and_saveexec_b64 s[76:77], vcc
	s_cbranch_execz .LBB2_242
; %bb.235:                              ;   in Loop: Header=BB2_68 Depth=2
	v_bfe_u32 v49, v20, 23, 8
	v_and_b32_e32 v19, 0x7fffff, v20
	v_cmp_gt_u32_e64 s[18:19], s38, v49
	v_sub_u32_e32 v20, 0x79, v49
	v_cmp_eq_u32_e32 vcc, 0, v49
	v_cndmask_b32_e64 v20, 0, v20, s[18:19]
	v_or_b32_e32 v23, 0x800000, v19
	v_cndmask_b32_e32 v42, v20, v8, vcc
	v_cndmask_b32_e32 v40, v23, v19, vcc
	v_add_u32_e32 v19, 20, v42
	v_lshlrev_b64 v[19:20], v19, -1
	v_add_u32_e32 v23, 19, v42
	v_lshlrev_b64 v[23:24], v23, 1
	v_bfi_b32 v20, v20, 0, 0
	v_bfi_b32 v19, v19, 0, v40
	v_cmp_eq_u64_e64 s[18:19], v[19:20], v[23:24]
	v_lshrrev_b64 v[19:20], v42, v[40:41]
	v_mov_b32_e32 v28, v20
	v_mov_b32_e32 v27, v19
	s_and_saveexec_b64 s[78:79], s[18:19]
; %bb.236:                              ;   in Loop: Header=BB2_68 Depth=2
	v_bfe_u32 v20, v19, 20, 1
	v_add_co_u32_e64 v20, s[18:19], v19, v20
	v_add_co_u32_e64 v27, s[18:19], -1, v20
; %bb.237:                              ;   in Loop: Header=BB2_68 Depth=2
	s_or_b64 exec, exec, s[78:79]
	v_add_u32_e32 v20, 0xffffff81, v49
	v_cndmask_b32_e32 v20, v20, v54, vcc
	v_lshrrev_b32_e32 v23, 23, v19
	v_add3_u32 v24, v42, v20, v23
	v_add_u32_e32 v23, 6, v24
	v_and_b32_e32 v20, 0xfffff, v27
	v_add_u32_e32 v40, v20, v19
	v_cmp_ne_u32_e32 vcc, 0, v23
                                        ; implicit-def: $vgpr19_vgpr20
                                        ; implicit-def: $vgpr27
	s_and_saveexec_b64 s[18:19], vcc
	s_xor_b64 s[18:19], exec, s[18:19]
; %bb.238:                              ;   in Loop: Header=BB2_68 Depth=2
	v_cmp_lt_u64_e32 vcc, s[58:59], v[40:41]
	v_add_u32_e32 v19, 7, v24
	v_cndmask_b32_e32 v27, v23, v19, vcc
	v_cndmask_b32_e64 v19, 0, 1, vcc
	v_lshrrev_b64 v[19:20], v19, v[40:41]
; %bb.239:                              ;   in Loop: Header=BB2_68 Depth=2
	s_andn2_saveexec_b64 s[18:19], s[18:19]
; %bb.240:                              ;   in Loop: Header=BB2_68 Depth=2
	v_mov_b32_e32 v19, v40
	v_bfe_u32 v27, v40, 23, 1
	v_mov_b32_e32 v20, v41
; %bb.241:                              ;   in Loop: Header=BB2_68 Depth=2
	s_or_b64 exec, exec, s[18:19]
	v_lshrrev_b64 v[19:20], 20, v[19:20]
	v_cmp_gt_i32_e32 vcc, 16, v27
	v_cndmask_b32_e32 v20, 0, v20, vcc
	v_cndmask_b32_e32 v19, 7, v19, vcc
	v_cmp_eq_u64_e64 s[18:19], 0, v[19:20]
	v_min_i32_e32 v20, 15, v27
	v_lshlrev_b32_e32 v20, 3, v20
	v_cmp_eq_u32_e32 vcc, 0, v27
	v_and_b32_e32 v20, 0xf8, v20
	v_and_or_b32 v19, v19, 7, v20
	s_and_b64 s[18:19], vcc, s[18:19]
	v_cndmask_b32_e64 v19, v19, 0, s[18:19]
	v_or_b32_e32 v19, v19, v0
.LBB2_242:                              ;   in Loop: Header=BB2_68 Depth=2
	s_or_b64 exec, exec, s[76:77]
                                        ; implicit-def: $vgpr0
.LBB2_243:                              ;   in Loop: Header=BB2_68 Depth=2
	s_andn2_saveexec_b64 s[18:19], s[74:75]
; %bb.244:                              ;   in Loop: Header=BB2_68 Depth=2
	v_or_b32_e32 v19, 0x7e, v0
; %bb.245:                              ;   in Loop: Header=BB2_68 Depth=2
	s_or_b64 exec, exec, s[18:19]
                                        ; implicit-def: $vgpr20
.LBB2_246:                              ;   in Loop: Header=BB2_68 Depth=2
	s_andn2_saveexec_b64 s[18:19], s[72:73]
	s_cbranch_execz .LBB2_67
; %bb.247:                              ;   in Loop: Header=BB2_68 Depth=2
	v_or_b32_sdwa v19, v20, s37 dst_sel:DWORD dst_unused:UNUSED_PAD src0_sel:BYTE_3 src1_sel:DWORD
	s_branch .LBB2_67
.LBB2_248:                              ;   in Loop: Header=BB2_30 Depth=1
	s_or_b64 exec, exec, s[62:63]
.LBB2_249:                              ;   in Loop: Header=BB2_30 Depth=1
	s_or_b64 exec, exec, s[60:61]
	v_and_b32_e32 v40, 0x7ffffff8, v21
	v_cmp_eq_u64_e32 vcc, s[44:45], v[40:41]
	v_cmp_gt_i32_e64 s[18:19], s34, v29
	s_and_b64 s[18:19], vcc, s[18:19]
	s_and_saveexec_b64 s[60:61], s[18:19]
	s_cbranch_execz .LBB2_252
; %bb.250:                              ;   in Loop: Header=BB2_30 Depth=1
	v_mul_lo_u32 v9, v9, s34
	v_ashrrev_i32_e32 v30, 31, v29
	v_lshlrev_b64 v[19:20], 4, v[29:30]
	v_mov_b32_e32 v17, v41
	v_ashrrev_i32_e32 v10, 31, v9
	v_lshlrev_b64 v[9:10], 4, v[9:10]
	s_mov_b64 s[62:63], 0
	s_waitcnt lgkmcnt(0)
	v_add_co_u32_e32 v0, vcc, v19, v9
	v_addc_co_u32_e32 v4, vcc, v20, v10, vcc
	buffer_load_dword v9, off, s[0:3], s32 offset:68 ; 4-byte Folded Reload
	buffer_load_dword v10, off, s[0:3], s32 offset:72 ; 4-byte Folded Reload
	s_waitcnt vmcnt(1)
	v_add_co_u32_e32 v27, vcc, v9, v0
	s_waitcnt vmcnt(0)
	v_addc_co_u32_e32 v28, vcc, v10, v4, vcc
.LBB2_251:                              ;   Parent Loop BB2_30 Depth=1
                                        ; =>  This Inner Loop Header: Depth=2
	v_mov_b32_e32 v19, v17
	v_mov_b32_e32 v20, v18
	v_add_u32_e32 v29, v29, v1
	global_store_dwordx4 v[27:28], v[17:20], off
	v_add_co_u32_e32 v27, vcc, v27, v5
	v_cmp_le_i32_e64 s[18:19], s34, v29
	s_or_b64 s[62:63], s[18:19], s[62:63]
	v_addc_co_u32_e32 v28, vcc, v28, v6, vcc
	s_andn2_b64 exec, exec, s[62:63]
	s_cbranch_execnz .LBB2_251
.LBB2_252:                              ;   in Loop: Header=BB2_30 Depth=1
	s_or_b64 exec, exec, s[60:61]
	buffer_load_dword v9, off, s[0:3], s32 offset:140 ; 4-byte Folded Reload
	buffer_load_dword v10, off, s[0:3], s32 offset:144 ; 4-byte Folded Reload
	v_add_co_u32_e64 v46, s[18:19], 1, v21
	v_addc_co_u32_e64 v47, s[18:19], 0, v22, s[18:19]
	s_waitcnt vmcnt(0)
	v_add_co_u32_e32 v23, vcc, v36, v9
	buffer_store_dword v36, off, s[0:3], s32 offset:128 ; 4-byte Folded Spill
	s_nop 0
	buffer_store_dword v37, off, s[0:3], s32 offset:132 ; 4-byte Folded Spill
	v_addc_co_u32_e32 v24, vcc, v37, v10, vcc
	s_andn2_b64 vcc, exec, s[42:43]
	s_cbranch_vccnz .LBB2_734
; %bb.253:                              ;   in Loop: Header=BB2_30 Depth=1
	s_waitcnt lgkmcnt(0)
	buffer_load_dword v0, off, s[0:3], s32 offset:204 ; 4-byte Folded Reload
	v_add_u16_e32 v49, 1, v21
	s_mov_b32 s48, 2
	buffer_store_dword v23, off, s[0:3], s32 offset:180 ; 4-byte Folded Spill
	buffer_store_dword v24, off, s[0:3], s32 offset:184 ; 4-byte Folded Spill
	s_waitcnt vmcnt(2)
	v_add_co_u32_e32 v9, vcc, v0, v23
	buffer_load_dword v0, off, s[0:3], s32 offset:208 ; 4-byte Folded Reload
	s_waitcnt vmcnt(0)
	v_addc_co_u32_e32 v10, vcc, v0, v24, vcc
	buffer_store_dword v9, off, s[0:3], s32 offset:104 ; 4-byte Folded Spill
	s_nop 0
	buffer_store_dword v10, off, s[0:3], s32 offset:108 ; 4-byte Folded Spill
	s_branch .LBB2_255
.LBB2_254:                              ;   in Loop: Header=BB2_255 Depth=2
	s_or_b64 exec, exec, s[60:61]
	v_add_co_u32_e32 v34, vcc, 1, v34
	v_addc_co_u32_e32 v35, vcc, 0, v35, vcc
	s_add_i32 s48, s48, 1
	v_add_co_u32_e32 v46, vcc, 1, v46
	v_addc_co_u32_e32 v47, vcc, 0, v47, vcc
	s_cmp_eq_u32 s48, s20
	v_add_u16_e32 v49, 1, v49
	s_cbranch_scc1 .LBB2_735
.LBB2_255:                              ;   Parent Loop BB2_30 Depth=1
                                        ; =>  This Loop Header: Depth=2
                                        ;       Child Loop BB2_260 Depth 3
                                        ;       Child Loop BB2_279 Depth 3
                                        ;       Child Loop BB2_299 Depth 3
                                        ;         Child Loop BB2_307 Depth 4
                                        ;       Child Loop BB2_723 Depth 3
                                        ;       Child Loop BB2_296 Depth 3
	s_sub_i32 s26, s20, s48
	s_lshl_b64 s[18:19], s[26:27], 2
	s_waitcnt lgkmcnt(0)
	v_mov_b32_e32 v0, s19
	v_add_co_u32_e32 v9, vcc, s18, v60
	v_addc_co_u32_e32 v10, vcc, v61, v0, vcc
	flat_load_dword v0, v[9:10]
	s_and_saveexec_b64 s[60:61], s[6:7]
	s_cbranch_execz .LBB2_271
; %bb.256:                              ;   in Loop: Header=BB2_255 Depth=2
	v_add_co_u32_e32 v17, vcc, 1, v15
	v_addc_co_u32_e32 v18, vcc, 0, v16, vcc
	v_add_co_u32_e32 v9, vcc, 8, v52
	v_addc_co_u32_e32 v10, vcc, 0, v53, vcc
	v_cmp_lt_u64_e32 vcc, v[9:10], v[17:18]
	s_and_saveexec_b64 s[62:63], vcc
	s_cbranch_execz .LBB2_268
; %bb.257:                              ;   in Loop: Header=BB2_255 Depth=2
	s_mov_b32 s26, 0
	v_cmp_eq_u32_e32 vcc, 0, v12
	s_mov_b64 s[72:73], 0
                                        ; implicit-def: $sgpr74_sgpr75
                                        ; implicit-def: $sgpr76_sgpr77
                                        ; implicit-def: $sgpr78_sgpr79
	s_branch .LBB2_260
.LBB2_258:                              ;   in Loop: Header=BB2_260 Depth=3
	s_or_b64 exec, exec, s[30:31]
	s_andn2_b64 s[18:19], s[78:79], exec
	s_and_b64 s[78:79], s[92:93], exec
	s_or_b64 s[78:79], s[18:19], s[78:79]
	s_andn2_b64 s[18:19], s[76:77], exec
	s_and_b64 s[76:77], s[90:91], exec
	s_or_b64 s[76:77], s[18:19], s[76:77]
.LBB2_259:                              ;   in Loop: Header=BB2_260 Depth=3
	s_or_b64 exec, exec, s[88:89]
	s_and_b64 s[18:19], exec, s[76:77]
	s_or_b64 s[72:73], s[18:19], s[72:73]
	s_andn2_b64 s[18:19], s[74:75], exec
	s_and_b64 s[74:75], s[78:79], exec
	s_or_b64 s[74:75], s[18:19], s[74:75]
	s_andn2_b64 exec, exec, s[72:73]
	s_cbranch_execz .LBB2_265
.LBB2_260:                              ;   Parent Loop BB2_30 Depth=1
                                        ;     Parent Loop BB2_255 Depth=2
                                        ; =>    This Inner Loop Header: Depth=3
	s_sleep 1
	s_waitcnt vmcnt(0) lgkmcnt(0)
	flat_load_dwordx2 v[52:53], v[50:51] glc
	v_mov_b32_e32 v12, 1
	s_or_b64 s[78:79], s[78:79], exec
	s_or_b64 s[76:77], s[76:77], exec
                                        ; implicit-def: $vgpr4
	s_and_saveexec_b64 s[88:89], vcc
	s_cbranch_execz .LBB2_259
; %bb.261:                              ;   in Loop: Header=BB2_260 Depth=3
	s_add_i32 s26, s26, 1
	s_cmpk_lg_i32 s26, 0x2710
	s_cselect_b64 s[94:95], -1, 0
	s_cmpk_eq_i32 s26, 0x2710
	s_mov_b64 s[90:91], -1
	s_mov_b64 s[92:93], -1
                                        ; implicit-def: $vgpr4
	s_cbranch_scc1 .LBB2_263
; %bb.262:                              ;   in Loop: Header=BB2_260 Depth=3
	v_mov_b32_e32 v12, 1
	s_and_saveexec_b64 s[30:31], s[94:95]
	s_cbranch_execz .LBB2_258
	s_branch .LBB2_264
.LBB2_263:                              ;   in Loop: Header=BB2_260 Depth=3
	s_trap 2
	s_waitcnt vmcnt(0) lgkmcnt(0)
	ds_read_b64 v[9:10], v0
	s_andn2_b64 s[94:95], s[94:95], exec
	s_mov_b32 s26, 0
	s_mov_b64 s[92:93], 0
	s_waitcnt lgkmcnt(0)
	flat_load_dword v4, v[9:10] glc
	s_waitcnt vmcnt(0) lgkmcnt(0)
	buffer_wbinvl1_vol
	v_cmp_eq_u32_e64 s[18:19], 0, v4
	s_and_b64 s[18:19], s[18:19], exec
	s_or_b64 s[94:95], s[94:95], s[18:19]
	v_mov_b32_e32 v12, 1
	s_and_saveexec_b64 s[30:31], s[94:95]
	s_cbranch_execz .LBB2_258
.LBB2_264:                              ;   in Loop: Header=BB2_260 Depth=3
	s_waitcnt vmcnt(0) lgkmcnt(0)
	v_add_co_u32_e64 v9, s[18:19], 8, v52
	v_addc_co_u32_e64 v10, s[18:19], 0, v53, s[18:19]
	v_cmp_ge_u64_e64 s[18:19], v[9:10], v[17:18]
	v_mov_b32_e32 v12, 0
	s_or_b64 s[92:93], s[92:93], exec
	s_orn2_b64 s[90:91], s[18:19], exec
	s_branch .LBB2_258
.LBB2_265:                              ;   in Loop: Header=BB2_255 Depth=2
	s_or_b64 exec, exec, s[72:73]
	s_xor_b64 s[18:19], s[74:75], -1
	s_and_saveexec_b64 s[72:73], s[18:19]
	s_xor_b64 s[18:19], exec, s[72:73]
	s_cbranch_execz .LBB2_267
; %bb.266:                              ;   in Loop: Header=BB2_255 Depth=2
	v_mov_b32_e32 v12, 1
	s_waitcnt vmcnt(0) lgkmcnt(0)
	ds_write_b32 v0, v4
	s_trap 2
.LBB2_267:                              ;   in Loop: Header=BB2_255 Depth=2
	s_or_b64 exec, exec, s[18:19]
.LBB2_268:                              ;   in Loop: Header=BB2_255 Depth=2
	s_or_b64 exec, exec, s[62:63]
	s_and_saveexec_b64 s[18:19], s[8:9]
	s_cbranch_execz .LBB2_270
; %bb.269:                              ;   in Loop: Header=BB2_255 Depth=2
	buffer_load_dword v11, off, s[0:3], s32 offset:112 ; 4-byte Folded Reload
	v_and_b32_e32 v40, 0x7ffffff8, v15
	v_and_b32_e32 v4, 7, v15
	v_mad_u64_u32 v[9:10], s[62:63], v4, 24, v[13:14]
	v_cmp_eq_u64_e32 vcc, s[44:45], v[40:41]
	v_mov_b32_e32 v4, s21
	s_waitcnt vmcnt(0)
	v_cndmask_b32_e32 v15, v11, v4, vcc
	v_ashrrev_i32_e32 v16, 31, v15
	flat_store_dwordx2 v[9:10], v[15:16] offset:8
	s_waitcnt vmcnt(0)
.LBB2_270:                              ;   in Loop: Header=BB2_255 Depth=2
	s_or_b64 exec, exec, s[18:19]
	v_mov_b32_e32 v15, v17
	v_mov_b32_e32 v16, v18
.LBB2_271:                              ;   in Loop: Header=BB2_255 Depth=2
	s_or_b64 exec, exec, s[60:61]
	s_and_saveexec_b64 s[18:19], s[10:11]
	s_cbranch_execz .LBB2_290
; %bb.272:                              ;   in Loop: Header=BB2_255 Depth=2
	s_and_saveexec_b64 s[60:61], s[40:41]
	s_xor_b64 s[60:61], exec, s[60:61]
	s_cbranch_execz .LBB2_287
; %bb.273:                              ;   in Loop: Header=BB2_255 Depth=2
	s_and_saveexec_b64 s[62:63], s[12:13]
	s_cbranch_execz .LBB2_286
; %bb.274:                              ;   in Loop: Header=BB2_255 Depth=2
	s_mov_b64 s[74:75], exec
	v_mbcnt_lo_u32_b32 v4, s74, 0
	v_mbcnt_hi_u32_b32 v4, s75, v4
	v_cmp_eq_u32_e32 vcc, 0, v4
	s_waitcnt vmcnt(0) lgkmcnt(0)
	buffer_wbinvl1_vol
	s_and_saveexec_b64 s[72:73], vcc
	s_cbranch_execz .LBB2_276
; %bb.275:                              ;   in Loop: Header=BB2_255 Depth=2
	s_bcnt1_i32_b64 s26, s[74:75]
	v_mov_b32_e32 v40, s26
	ds_add_u64 v0, v[40:41]
	s_trap 2
.LBB2_276:                              ;   in Loop: Header=BB2_255 Depth=2
	s_or_b64 exec, exec, s[72:73]
	s_trap 2
	ds_read_b64 v[9:10], v0
	s_waitcnt lgkmcnt(0)
	buffer_load_dword v4, off, s[0:3], s32 offset:116 ; 4-byte Folded Reload
	s_waitcnt vmcnt(0)
	v_add_co_u32_e32 v2, vcc, v2, v4
	v_addc_co_u32_e32 v3, vcc, 0, v3, vcc
	v_cmp_lt_u64_e32 vcc, v[9:10], v[2:3]
	s_and_saveexec_b64 s[72:73], vcc
	s_cbranch_execz .LBB2_285
; %bb.277:                              ;   in Loop: Header=BB2_255 Depth=2
	s_mov_b32 s26, 0
	s_mov_b64 s[74:75], 0
                                        ; implicit-def: $sgpr76_sgpr77
                                        ; implicit-def: $sgpr78_sgpr79
	s_branch .LBB2_279
.LBB2_278:                              ;   in Loop: Header=BB2_279 Depth=3
	s_or_b64 exec, exec, s[90:91]
	s_and_b64 s[88:89], exec, s[92:93]
	s_or_b64 s[74:75], s[88:89], s[74:75]
	s_andn2_b64 s[76:77], s[76:77], exec
	s_and_b64 s[88:89], s[78:79], exec
	s_or_b64 s[76:77], s[76:77], s[88:89]
	s_andn2_b64 exec, exec, s[74:75]
	s_cbranch_execz .LBB2_283
.LBB2_279:                              ;   Parent Loop BB2_30 Depth=1
                                        ;     Parent Loop BB2_255 Depth=2
                                        ; =>    This Inner Loop Header: Depth=3
	s_add_i32 s26, s26, 1
	s_cmpk_lg_i32 s26, 0x2710
	s_cselect_b64 s[88:89], -1, 0
	s_and_b64 vcc, exec, s[88:89]
	s_cbranch_vccz .LBB2_281
; %bb.280:                              ;   in Loop: Header=BB2_279 Depth=3
	s_mov_b64 s[92:93], -1
	s_or_b64 s[78:79], s[78:79], exec
	s_and_saveexec_b64 s[90:91], s[88:89]
	s_cbranch_execz .LBB2_278
	s_branch .LBB2_282
.LBB2_281:                              ;   in Loop: Header=BB2_279 Depth=3
	s_trap 2
	ds_read_b64 v[9:10], v0
	s_andn2_b64 s[88:89], s[88:89], exec
	s_mov_b32 s26, 0
	s_waitcnt lgkmcnt(0)
	flat_load_dword v4, v[9:10] glc
	s_waitcnt vmcnt(0) lgkmcnt(0)
	buffer_wbinvl1_vol
	v_cmp_eq_u32_e32 vcc, 0, v4
	s_and_b64 s[90:91], vcc, exec
	s_or_b64 s[88:89], s[88:89], s[90:91]
	s_mov_b64 s[92:93], -1
	s_or_b64 s[78:79], s[78:79], exec
	s_and_saveexec_b64 s[90:91], s[88:89]
	s_cbranch_execz .LBB2_278
.LBB2_282:                              ;   in Loop: Header=BB2_279 Depth=3
	s_sleep 1
	s_trap 2
	ds_read_b64 v[9:10], v0
	s_waitcnt lgkmcnt(0)
	s_andn2_b64 s[78:79], s[78:79], exec
	v_cmp_ge_u64_e32 vcc, v[9:10], v[2:3]
	s_orn2_b64 s[92:93], vcc, exec
	s_branch .LBB2_278
.LBB2_283:                              ;   in Loop: Header=BB2_255 Depth=2
	s_or_b64 exec, exec, s[74:75]
	s_and_saveexec_b64 s[74:75], s[76:77]
	s_xor_b64 s[74:75], exec, s[74:75]
	s_cbranch_execz .LBB2_285
; %bb.284:                              ;   in Loop: Header=BB2_255 Depth=2
	v_mov_b32_e32 v4, 1
	ds_write_b32 v0, v4
	s_trap 2
.LBB2_285:                              ;   in Loop: Header=BB2_255 Depth=2
	s_or_b64 exec, exec, s[72:73]
	;;#ASMSTART
	s_wakeup
	;;#ASMEND
.LBB2_286:                              ;   in Loop: Header=BB2_255 Depth=2
	s_or_b64 exec, exec, s[62:63]
.LBB2_287:                              ;   in Loop: Header=BB2_255 Depth=2
	s_andn2_saveexec_b64 s[60:61], s[60:61]
	s_cbranch_execz .LBB2_289
; %bb.288:                              ;   in Loop: Header=BB2_255 Depth=2
	s_waitcnt vmcnt(0) lgkmcnt(0)
	buffer_wbinvl1_vol
	s_barrier
.LBB2_289:                              ;   in Loop: Header=BB2_255 Depth=2
	s_or_b64 exec, exec, s[60:61]
.LBB2_290:                              ;   in Loop: Header=BB2_255 Depth=2
	s_or_b64 exec, exec, s[18:19]
	buffer_load_dword v58, off, s[0:3], s32 offset:60 ; 4-byte Folded Reload
	buffer_load_dword v59, off, s[0:3], s32 offset:64 ; 4-byte Folded Reload
	v_add_u32_e32 v18, 1, v46
	s_and_saveexec_b64 s[60:61], s[16:17]
	s_cbranch_execnz .LBB2_297
; %bb.291:                              ;   in Loop: Header=BB2_255 Depth=2
	s_or_b64 exec, exec, s[60:61]
	s_and_saveexec_b64 s[18:19], s[10:11]
	s_cbranch_execnz .LBB2_716
.LBB2_292:                              ;   in Loop: Header=BB2_255 Depth=2
	s_or_b64 exec, exec, s[18:19]
	s_and_saveexec_b64 s[18:19], s[14:15]
	s_cbranch_execz .LBB2_294
.LBB2_293:                              ;   in Loop: Header=BB2_255 Depth=2
	buffer_load_dword v9, off, s[0:3], s32 offset:88 ; 4-byte Folded Reload
	buffer_load_dword v10, off, s[0:3], s32 offset:92 ; 4-byte Folded Reload
	v_add_co_u32_e32 v38, vcc, 1, v38
	v_addc_co_u32_e32 v39, vcc, 0, v39, vcc
	s_waitcnt vmcnt(0)
	flat_store_dwordx2 v[9:10], v[38:39]
.LBB2_294:                              ;   in Loop: Header=BB2_255 Depth=2
	s_or_b64 exec, exec, s[18:19]
	v_and_b32_e32 v40, 0x7ffffff8, v46
	v_cmp_eq_u64_e32 vcc, s[44:45], v[40:41]
	s_waitcnt vmcnt(0)
	v_cmp_gt_i32_e64 s[18:19], s34, v58
	s_and_b64 s[18:19], vcc, s[18:19]
	s_and_saveexec_b64 s[60:61], s[18:19]
	s_cbranch_execz .LBB2_254
; %bb.295:                              ;   in Loop: Header=BB2_255 Depth=2
	s_waitcnt lgkmcnt(0)
	v_and_b32_e32 v0, 7, v49
	v_mul_lo_u32 v9, s34, v0
	v_ashrrev_i32_e32 v59, 31, v58
	v_lshlrev_b64 v[19:20], 4, v[58:59]
	v_mov_b32_e32 v17, v41
	v_ashrrev_i32_e32 v10, 31, v9
	v_lshlrev_b64 v[9:10], 4, v[9:10]
	s_mov_b64 s[62:63], 0
	v_add_co_u32_e32 v0, vcc, v19, v9
	v_addc_co_u32_e32 v4, vcc, v20, v10, vcc
	buffer_load_dword v9, off, s[0:3], s32 offset:68 ; 4-byte Folded Reload
	buffer_load_dword v10, off, s[0:3], s32 offset:72 ; 4-byte Folded Reload
	s_waitcnt vmcnt(1)
	v_add_co_u32_e32 v21, vcc, v9, v0
	s_waitcnt vmcnt(0)
	v_addc_co_u32_e32 v22, vcc, v10, v4, vcc
.LBB2_296:                              ;   Parent Loop BB2_30 Depth=1
                                        ;     Parent Loop BB2_255 Depth=2
                                        ; =>    This Inner Loop Header: Depth=3
	v_mov_b32_e32 v19, v17
	v_mov_b32_e32 v20, v18
	v_add_u32_e32 v58, v58, v1
	global_store_dwordx4 v[21:22], v[17:20], off
	v_add_co_u32_e32 v21, vcc, v21, v5
	v_cmp_le_i32_e64 s[18:19], s34, v58
	s_or_b64 s[62:63], s[18:19], s[62:63]
	v_addc_co_u32_e32 v22, vcc, v22, v6, vcc
	s_andn2_b64 exec, exec, s[62:63]
	s_cbranch_execnz .LBB2_296
	s_branch .LBB2_254
.LBB2_297:                              ;   in Loop: Header=BB2_255 Depth=2
	buffer_load_dword v9, off, s[0:3], s32 offset:80 ; 4-byte Folded Reload
	buffer_load_dword v10, off, s[0:3], s32 offset:104 ; 4-byte Folded Reload
	;; [unrolled: 1-line block ×3, first 2 shown]
	v_mov_b32_e32 v36, v60
	v_mov_b32_e32 v37, v61
	s_waitcnt vmcnt(0) lgkmcnt(0)
	v_ashrrev_i32_e32 v4, 31, v0
	s_mov_b64 s[62:63], 0
	v_mov_b32_e32 v33, v48
	v_mul_lo_u32 v4, v9, v4
	v_mad_u64_u32 v[60:61], s[18:19], v9, v0, v[10:11]
	buffer_load_dword v10, off, s[0:3], s32 offset:84 ; 4-byte Folded Reload
	buffer_load_dword v20, off, s[0:3], s32 offset:96 ; 4-byte Folded Reload
	;; [unrolled: 1-line block ×3, first 2 shown]
	v_and_b32_e32 v9, 7, v34
	v_mul_lo_u32 v9, v9, s34
	s_waitcnt vmcnt(2)
	v_mul_lo_u32 v0, v10, v0
	v_ashrrev_i32_e32 v10, 31, v9
	v_lshlrev_b64 v[9:10], 4, v[9:10]
	s_waitcnt vmcnt(1)
	v_add_co_u32_e32 v11, vcc, v20, v9
	s_waitcnt vmcnt(0)
	v_addc_co_u32_e32 v9, vcc, v21, v10, vcc
	buffer_load_dword v21, off, s[0:3], s32 offset:68 ; 4-byte Folded Reload
	buffer_load_dword v22, off, s[0:3], s32 offset:72 ; 4-byte Folded Reload
	;; [unrolled: 1-line block ×4, first 2 shown]
	v_add3_u32 v61, v0, v61, v4
	v_and_b32_e32 v0, 7, v46
	v_mul_lo_u32 v19, v0, s34
	v_add_u32_e32 v10, 1, v34
	v_ashrrev_i32_e32 v20, 31, v19
	v_lshlrev_b64 v[19:20], 4, v[19:20]
	s_waitcnt vmcnt(3)
	v_add_co_u32_e32 v26, vcc, v21, v19
	s_waitcnt vmcnt(2)
	v_addc_co_u32_e32 v32, vcc, v22, v20, vcc
	s_branch .LBB2_299
.LBB2_298:                              ;   in Loop: Header=BB2_299 Depth=3
	s_or_b64 exec, exec, s[18:19]
	v_add_co_u32_e32 v60, vcc, v60, v25
	v_lshlrev_b32_e32 v0, 8, v44
	v_lshlrev_b32_e32 v20, 16, v42
	v_addc_co_u32_e32 v61, vcc, 0, v61, vcc
	v_or3_b32 v0, v0, v17, v20
	v_lshlrev_b32_e32 v20, 8, v22
	v_lshlrev_b32_e32 v21, 16, v27
	v_or3_b32 v4, v20, v4, v21
	v_add_co_u32_e32 v21, vcc, v26, v29
	v_addc_co_u32_e32 v22, vcc, v32, v30, vcc
	v_sub_u32_e32 v33, v33, v25
	v_lshlrev_b32_e32 v17, 24, v43
	v_lshlrev_b32_e32 v19, 24, v19
	v_cmp_gt_i32_e32 vcc, 1, v33
	v_or3_b32 v17, v0, v17, 0
	v_or3_b32 v19, v4, v19, 0
	v_mov_b32_e32 v20, v18
	s_or_b64 s[62:63], vcc, s[62:63]
	v_add_u32_e32 v58, v58, v1
	global_store_dwordx4 v[21:22], v[17:20], off
	s_andn2_b64 exec, exec, s[62:63]
	s_cbranch_execz .LBB2_715
.LBB2_299:                              ;   Parent Loop BB2_30 Depth=1
                                        ;     Parent Loop BB2_255 Depth=2
                                        ; =>    This Loop Header: Depth=3
                                        ;         Child Loop BB2_307 Depth 4
	v_and_b32_e32 v19, -4, v60
	v_mov_b32_e32 v20, v61
	global_load_dword v0, v[19:20], off glc slc
	v_min_u32_e32 v4, 8, v33
	v_and_b32_e32 v17, 3, v60
	v_add_u32_e32 v40, v17, v4
	v_cmp_lt_u32_e32 vcc, 4, v40
	v_mov_b32_e32 v31, 0
	v_mov_b32_e32 v45, 0
	s_and_saveexec_b64 s[18:19], vcc
	s_cbranch_execz .LBB2_301
; %bb.300:                              ;   in Loop: Header=BB2_299 Depth=3
	global_load_dword v45, v[19:20], off offset:4 glc slc
.LBB2_301:                              ;   in Loop: Header=BB2_299 Depth=3
	s_or_b64 exec, exec, s[18:19]
	v_cmp_lt_u64_e32 vcc, 8, v[40:41]
	s_and_saveexec_b64 s[18:19], vcc
	s_cbranch_execz .LBB2_303
; %bb.302:                              ;   in Loop: Header=BB2_299 Depth=3
	global_load_dword v31, v[19:20], off offset:8 glc slc
.LBB2_303:                              ;   in Loop: Header=BB2_299 Depth=3
	s_or_b64 exec, exec, s[18:19]
	s_waitcnt vmcnt(1)
	v_mov_b32_e32 v59, v41
	v_lshlrev_b64 v[29:30], 4, v[58:59]
	v_add_co_u32_e32 v27, vcc, v11, v29
	v_addc_co_u32_e32 v28, vcc, v9, v30, vcc
	global_load_dwordx4 v[19:22], v[27:28], off glc slc
	v_cmp_eq_u32_e32 vcc, 0, v12
	v_mov_b32_e32 v12, 1
	s_and_saveexec_b64 s[72:73], vcc
	s_cbranch_execz .LBB2_315
; %bb.304:                              ;   in Loop: Header=BB2_299 Depth=3
	s_waitcnt vmcnt(0)
	v_cmp_ne_u32_e32 vcc, v10, v20
	v_cmp_ne_u32_e64 s[18:19], v10, v22
	s_or_b64 s[18:19], vcc, s[18:19]
	v_mov_b32_e32 v12, 0
	s_and_saveexec_b64 s[74:75], s[18:19]
	s_cbranch_execz .LBB2_314
; %bb.305:                              ;   in Loop: Header=BB2_299 Depth=3
	s_mov_b32 s26, 1
	s_mov_b64 s[78:79], 0
                                        ; implicit-def: $sgpr76_sgpr77
                                        ; implicit-def: $sgpr88_sgpr89
	s_branch .LBB2_307
.LBB2_306:                              ;   in Loop: Header=BB2_307 Depth=4
	s_or_b64 exec, exec, s[92:93]
	s_and_b64 s[18:19], exec, s[18:19]
	s_or_b64 s[78:79], s[18:19], s[78:79]
	s_andn2_b64 s[18:19], s[76:77], exec
	s_and_b64 s[76:77], s[88:89], exec
	s_or_b64 s[76:77], s[18:19], s[76:77]
	s_andn2_b64 exec, exec, s[78:79]
	s_cbranch_execz .LBB2_311
.LBB2_307:                              ;   Parent Loop BB2_30 Depth=1
                                        ;     Parent Loop BB2_255 Depth=2
                                        ;       Parent Loop BB2_299 Depth=3
                                        ; =>      This Inner Loop Header: Depth=4
	global_load_dwordx4 v[19:22], v[27:28], off glc slc
	s_add_i32 s26, s26, 1
	s_mov_b64 s[18:19], -1
	s_cmpk_lg_i32 s26, 0x2710
	s_mov_b64 s[90:91], -1
                                        ; implicit-def: $vgpr4
	s_cbranch_scc0 .LBB2_309
; %bb.308:                              ;   in Loop: Header=BB2_307 Depth=4
	s_or_b64 s[88:89], s[88:89], exec
	s_and_saveexec_b64 s[92:93], s[90:91]
	s_cbranch_execz .LBB2_306
	s_branch .LBB2_310
.LBB2_309:                              ;   in Loop: Header=BB2_307 Depth=4
	s_trap 2
	ds_read_b64 v[23:24], v0
	s_mov_b32 s26, 0
	s_waitcnt vmcnt(0) lgkmcnt(0)
	flat_load_dword v4, v[23:24] glc
	s_waitcnt vmcnt(0) lgkmcnt(0)
	buffer_wbinvl1_vol
	v_cmp_eq_u32_e32 vcc, 0, v4
	s_orn2_b64 s[90:91], vcc, exec
	s_or_b64 s[88:89], s[88:89], exec
	s_and_saveexec_b64 s[92:93], s[90:91]
	s_cbranch_execz .LBB2_306
.LBB2_310:                              ;   in Loop: Header=BB2_307 Depth=4
	s_waitcnt vmcnt(0)
	v_cmp_eq_u32_e32 vcc, v10, v20
	v_cmp_eq_u32_e64 s[18:19], v10, v22
	s_and_b64 s[18:19], vcc, s[18:19]
	s_andn2_b64 s[88:89], s[88:89], exec
	s_orn2_b64 s[18:19], s[18:19], exec
	s_branch .LBB2_306
.LBB2_311:                              ;   in Loop: Header=BB2_299 Depth=3
	s_or_b64 exec, exec, s[78:79]
	v_mov_b32_e32 v12, 0
	s_and_saveexec_b64 s[18:19], s[76:77]
	s_xor_b64 s[18:19], exec, s[18:19]
	s_cbranch_execz .LBB2_313
; %bb.312:                              ;   in Loop: Header=BB2_299 Depth=3
	v_mov_b32_e32 v12, 1
	ds_write_b32 v0, v4
	s_trap 2
.LBB2_313:                              ;   in Loop: Header=BB2_299 Depth=3
	s_or_b64 exec, exec, s[18:19]
.LBB2_314:                              ;   in Loop: Header=BB2_299 Depth=3
	s_or_b64 exec, exec, s[74:75]
.LBB2_315:                              ;   in Loop: Header=BB2_299 Depth=3
	s_or_b64 exec, exec, s[72:73]
	v_lshlrev_b32_e32 v57, 3, v60
	s_waitcnt vmcnt(1)
	v_alignbit_b32 v40, v45, v0, v57
	v_cmp_ne_u16_sdwa s[72:73], v40, v41 src0_sel:BYTE_0 src1_sel:DWORD
	v_mov_b32_e32 v0, 0
	s_and_saveexec_b64 s[18:19], s[72:73]
	s_cbranch_execz .LBB2_321
; %bb.316:                              ;   in Loop: Header=BB2_299 Depth=3
	v_cmp_ne_u16_sdwa s[74:75], v40, s36 src0_sel:BYTE_0 src1_sel:DWORD
	v_bfrev_b32_e32 v0, 1
	s_and_saveexec_b64 s[72:73], s[74:75]
	s_cbranch_execz .LBB2_320
; %bb.317:                              ;   in Loop: Header=BB2_299 Depth=3
	v_and_b32_e32 v4, 0x7f, v40
	v_cmp_ne_u32_e32 vcc, s37, v4
	v_mov_b32_e32 v0, 0x7f800001
	s_and_saveexec_b64 s[74:75], vcc
	s_cbranch_execz .LBB2_319
; %bb.318:                              ;   in Loop: Header=BB2_299 Depth=3
	v_and_b32_e32 v0, 7, v40
	v_ffbh_u32_e32 v0, v0
	v_min_u32_e32 v0, 32, v0
	v_lshrrev_b32_e32 v17, 3, v4
	v_cmp_gt_u32_e32 vcc, 8, v4
	v_subrev_u32_e32 v4, 28, v0
	v_cndmask_b32_e32 v4, 0, v4, vcc
	v_lshlrev_b64 v[23:24], v4, v[40:41]
	v_sub_u32_e32 v0, 29, v0
	v_cndmask_b32_e32 v0, v17, v0, vcc
	v_lshlrev_b32_e32 v4, 20, v23
	v_lshlrev_b32_e32 v17, 24, v40
	v_and_b32_e32 v4, 0x700000, v4
	v_and_b32_e32 v17, 0x80000000, v17
	v_lshl_add_u32 v0, v0, 23, v7
	v_or3_b32 v0, v17, v0, v4
.LBB2_319:                              ;   in Loop: Header=BB2_299 Depth=3
	s_or_b64 exec, exec, s[74:75]
.LBB2_320:                              ;   in Loop: Header=BB2_299 Depth=3
	s_or_b64 exec, exec, s[72:73]
.LBB2_321:                              ;   in Loop: Header=BB2_299 Depth=3
	s_or_b64 exec, exec, s[18:19]
	v_mul_f32_e32 v4, v62, v0
	v_and_b32_e32 v23, 0x7f800000, v4
	v_mov_b32_e32 v24, v41
	v_cmp_ne_u64_e32 vcc, s[46:47], v[23:24]
                                        ; implicit-def: $vgpr17
	s_and_saveexec_b64 s[18:19], vcc
	s_xor_b64 s[72:73], exec, s[18:19]
	s_cbranch_execz .LBB2_335
; %bb.322:                              ;   in Loop: Header=BB2_299 Depth=3
	v_and_b32_e32 v23, 0x7fffffff, v4
	v_mov_b32_e32 v24, v41
	v_cmp_gt_u64_e32 vcc, s[56:57], v[23:24]
	v_and_b32_sdwa v0, v4, s36 dst_sel:DWORD dst_unused:UNUSED_PAD src0_sel:BYTE_3 src1_sel:DWORD
                                        ; implicit-def: $vgpr17
	s_and_saveexec_b64 s[18:19], vcc
	s_xor_b64 s[74:75], exec, s[18:19]
	s_cbranch_execz .LBB2_332
; %bb.323:                              ;   in Loop: Header=BB2_299 Depth=3
	v_mov_b32_e32 v17, 0
	v_cmp_ne_u32_e32 vcc, 0, v4
	s_and_saveexec_b64 s[76:77], vcc
	s_cbranch_execz .LBB2_331
; %bb.324:                              ;   in Loop: Header=BB2_299 Depth=3
	v_and_b32_e32 v23, 0x7fffff, v4
	v_bfe_u32 v4, v4, 23, 8
	v_cmp_gt_u32_e64 s[18:19], s38, v4
	v_sub_u32_e32 v17, 0x79, v4
	v_cmp_eq_u32_e32 vcc, 0, v4
	v_cndmask_b32_e64 v17, 0, v17, s[18:19]
	v_cndmask_b32_e32 v17, v17, v8, vcc
	v_add_u32_e32 v27, 20, v17
	v_or_b32_e32 v24, 0x800000, v23
	v_lshlrev_b64 v[27:28], v27, -1
	v_add_u32_e32 v42, 19, v17
	v_cndmask_b32_e32 v23, v24, v23, vcc
	v_lshlrev_b64 v[42:43], v42, 1
	v_mov_b32_e32 v24, v41
	v_bfi_b32 v28, v28, 0, 0
	v_bfi_b32 v27, v27, 0, v23
	v_cmp_eq_u64_e64 s[18:19], v[27:28], v[42:43]
	v_lshrrev_b64 v[27:28], v17, v[23:24]
	v_mov_b32_e32 v43, v28
	v_mov_b32_e32 v42, v27
	s_and_saveexec_b64 s[78:79], s[18:19]
; %bb.325:                              ;   in Loop: Header=BB2_299 Depth=3
	v_bfe_u32 v23, v27, 20, 1
	v_add_co_u32_e64 v23, s[18:19], v27, v23
	v_add_co_u32_e64 v42, s[18:19], -1, v23
; %bb.326:                              ;   in Loop: Header=BB2_299 Depth=3
	s_or_b64 exec, exec, s[78:79]
	v_add_u32_e32 v4, 0xffffff81, v4
	v_cndmask_b32_e32 v4, v4, v54, vcc
	v_lshrrev_b32_e32 v23, 23, v27
	v_add3_u32 v23, v17, v4, v23
	v_add_u32_e32 v17, 6, v23
	v_and_b32_e32 v4, 0xfffff, v42
	v_add_u32_e32 v27, v4, v27
	v_mov_b32_e32 v28, v41
	v_cmp_ne_u32_e32 vcc, 0, v17
                                        ; implicit-def: $vgpr4
	s_and_saveexec_b64 s[18:19], vcc
	s_xor_b64 s[18:19], exec, s[18:19]
; %bb.327:                              ;   in Loop: Header=BB2_299 Depth=3
	v_cmp_lt_u64_e32 vcc, s[58:59], v[27:28]
	v_add_u32_e32 v4, 7, v23
	v_cndmask_b32_e32 v4, v17, v4, vcc
	v_cndmask_b32_e64 v17, 0, 1, vcc
	v_lshrrev_b64 v[27:28], v17, v[27:28]
; %bb.328:                              ;   in Loop: Header=BB2_299 Depth=3
	s_andn2_saveexec_b64 s[18:19], s[18:19]
; %bb.329:                              ;   in Loop: Header=BB2_299 Depth=3
	v_bfe_u32 v4, v27, 23, 1
; %bb.330:                              ;   in Loop: Header=BB2_299 Depth=3
	s_or_b64 exec, exec, s[18:19]
	v_lshrrev_b64 v[23:24], 20, v[27:28]
	v_cmp_gt_i32_e32 vcc, 16, v4
	v_cndmask_b32_e32 v24, 0, v24, vcc
	v_cndmask_b32_e32 v23, 7, v23, vcc
	v_cmp_eq_u32_e32 vcc, 0, v4
	v_min_i32_e32 v4, 15, v4
	v_cmp_eq_u64_e64 s[18:19], 0, v[23:24]
	v_lshlrev_b32_e32 v4, 3, v4
	v_and_b32_e32 v4, 0xf8, v4
	v_and_or_b32 v4, v23, 7, v4
	s_and_b64 s[18:19], vcc, s[18:19]
	v_cndmask_b32_e64 v4, v4, 0, s[18:19]
	v_or_b32_e32 v17, v4, v0
.LBB2_331:                              ;   in Loop: Header=BB2_299 Depth=3
	s_or_b64 exec, exec, s[76:77]
                                        ; implicit-def: $vgpr0
.LBB2_332:                              ;   in Loop: Header=BB2_299 Depth=3
	s_andn2_saveexec_b64 s[18:19], s[74:75]
; %bb.333:                              ;   in Loop: Header=BB2_299 Depth=3
	v_or_b32_e32 v17, 0x7e, v0
; %bb.334:                              ;   in Loop: Header=BB2_299 Depth=3
	s_or_b64 exec, exec, s[18:19]
                                        ; implicit-def: $vgpr4
.LBB2_335:                              ;   in Loop: Header=BB2_299 Depth=3
	s_andn2_saveexec_b64 s[18:19], s[72:73]
; %bb.336:                              ;   in Loop: Header=BB2_299 Depth=3
	v_or_b32_sdwa v17, v4, s37 dst_sel:DWORD dst_unused:UNUSED_PAD src0_sel:BYTE_3 src1_sel:DWORD
; %bb.337:                              ;   in Loop: Header=BB2_299 Depth=3
	s_or_b64 exec, exec, s[18:19]
	v_lshrrev_b16_e32 v0, 8, v40
	v_cmp_ne_u16_e32 vcc, 0, v0
	v_mov_b32_e32 v4, 0
	s_and_saveexec_b64 s[18:19], vcc
	s_cbranch_execz .LBB2_343
; %bb.338:                              ;   in Loop: Header=BB2_299 Depth=3
	v_cmp_ne_u16_e32 vcc, s36, v0
	v_bfrev_b32_e32 v4, 1
	s_and_saveexec_b64 s[72:73], vcc
	s_cbranch_execz .LBB2_342
; %bb.339:                              ;   in Loop: Header=BB2_299 Depth=3
	v_and_b32_e32 v23, 0x7f, v0
	v_cmp_ne_u32_e32 vcc, s37, v23
	v_mov_b32_e32 v4, 0x7f800001
	s_and_saveexec_b64 s[74:75], vcc
	s_cbranch_execz .LBB2_341
; %bb.340:                              ;   in Loop: Header=BB2_299 Depth=3
	v_and_b32_e32 v4, 7, v0
	v_lshrrev_b32_e32 v27, 3, v23
	v_cmp_gt_u32_e32 vcc, 8, v23
	v_ffbh_u32_e32 v23, v4
	v_min_u32_e32 v28, 32, v23
	v_subrev_u32_e32 v23, 28, v28
	v_lshlrev_b64 v[23:24], v23, v[0:1]
	v_sub_u32_e32 v0, 29, v28
	v_and_b32_e32 v23, 7, v23
	v_cndmask_b32_e32 v0, v27, v0, vcc
	v_cndmask_b32_e32 v4, v4, v23, vcc
	v_lshlrev_b32_e32 v23, 16, v40
	v_lshlrev_b32_e32 v4, 20, v4
	v_and_b32_e32 v23, 0x80000000, v23
	v_lshl_add_u32 v0, v0, 23, v7
	v_or3_b32 v4, v23, v0, v4
.LBB2_341:                              ;   in Loop: Header=BB2_299 Depth=3
	s_or_b64 exec, exec, s[74:75]
.LBB2_342:                              ;   in Loop: Header=BB2_299 Depth=3
	s_or_b64 exec, exec, s[72:73]
.LBB2_343:                              ;   in Loop: Header=BB2_299 Depth=3
	s_or_b64 exec, exec, s[18:19]
	v_mul_f32_e32 v4, v62, v4
	v_and_b32_e32 v23, 0x7f800000, v4
	v_mov_b32_e32 v24, v41
	v_cmp_ne_u64_e32 vcc, s[46:47], v[23:24]
                                        ; implicit-def: $vgpr44
	s_and_saveexec_b64 s[18:19], vcc
	s_xor_b64 s[72:73], exec, s[18:19]
	s_cbranch_execz .LBB2_357
; %bb.344:                              ;   in Loop: Header=BB2_299 Depth=3
	v_and_b32_e32 v23, 0x7fffffff, v4
	v_mov_b32_e32 v24, v41
	v_cmp_gt_u64_e32 vcc, s[56:57], v[23:24]
	v_and_b32_sdwa v0, v4, s36 dst_sel:DWORD dst_unused:UNUSED_PAD src0_sel:BYTE_3 src1_sel:DWORD
                                        ; implicit-def: $vgpr44
	s_and_saveexec_b64 s[18:19], vcc
	s_xor_b64 s[74:75], exec, s[18:19]
	s_cbranch_execz .LBB2_354
; %bb.345:                              ;   in Loop: Header=BB2_299 Depth=3
	v_mov_b32_e32 v44, 0
	v_cmp_ne_u32_e32 vcc, 0, v4
	s_and_saveexec_b64 s[76:77], vcc
	s_cbranch_execz .LBB2_353
; %bb.346:                              ;   in Loop: Header=BB2_299 Depth=3
	v_and_b32_e32 v23, 0x7fffff, v4
	v_bfe_u32 v4, v4, 23, 8
	v_cmp_gt_u32_e64 s[18:19], s38, v4
	v_sub_u32_e32 v24, 0x79, v4
	v_cmp_eq_u32_e32 vcc, 0, v4
	v_cndmask_b32_e64 v24, 0, v24, s[18:19]
	v_or_b32_e32 v27, 0x800000, v23
	v_cndmask_b32_e32 v44, v24, v8, vcc
	v_cndmask_b32_e32 v23, v27, v23, vcc
	v_add_u32_e32 v27, 20, v44
	v_lshlrev_b64 v[27:28], v27, -1
	v_add_u32_e32 v42, 19, v44
	v_lshlrev_b64 v[42:43], v42, 1
	v_mov_b32_e32 v24, v41
	v_bfi_b32 v28, v28, 0, 0
	v_bfi_b32 v27, v27, 0, v23
	v_cmp_eq_u64_e64 s[18:19], v[27:28], v[42:43]
	v_lshrrev_b64 v[27:28], v44, v[23:24]
	v_mov_b32_e32 v43, v28
	v_mov_b32_e32 v42, v27
	s_and_saveexec_b64 s[78:79], s[18:19]
; %bb.347:                              ;   in Loop: Header=BB2_299 Depth=3
	v_bfe_u32 v23, v27, 20, 1
	v_add_co_u32_e64 v23, s[18:19], v27, v23
	v_add_co_u32_e64 v42, s[18:19], -1, v23
; %bb.348:                              ;   in Loop: Header=BB2_299 Depth=3
	s_or_b64 exec, exec, s[78:79]
	v_add_u32_e32 v4, 0xffffff81, v4
	v_cndmask_b32_e32 v4, v4, v54, vcc
	v_lshrrev_b32_e32 v23, 23, v27
	v_add3_u32 v24, v44, v4, v23
	v_add_u32_e32 v23, 6, v24
	v_and_b32_e32 v4, 0xfffff, v42
	v_add_u32_e32 v27, v4, v27
	v_mov_b32_e32 v28, v41
	v_cmp_ne_u32_e32 vcc, 0, v23
                                        ; implicit-def: $vgpr4
	s_and_saveexec_b64 s[18:19], vcc
	s_xor_b64 s[18:19], exec, s[18:19]
; %bb.349:                              ;   in Loop: Header=BB2_299 Depth=3
	v_cmp_lt_u64_e32 vcc, s[58:59], v[27:28]
	v_add_u32_e32 v4, 7, v24
	v_cndmask_b32_e32 v4, v23, v4, vcc
	v_cndmask_b32_e64 v23, 0, 1, vcc
	v_lshrrev_b64 v[27:28], v23, v[27:28]
; %bb.350:                              ;   in Loop: Header=BB2_299 Depth=3
	s_andn2_saveexec_b64 s[18:19], s[18:19]
; %bb.351:                              ;   in Loop: Header=BB2_299 Depth=3
	v_bfe_u32 v4, v27, 23, 1
; %bb.352:                              ;   in Loop: Header=BB2_299 Depth=3
	s_or_b64 exec, exec, s[18:19]
	v_lshrrev_b64 v[23:24], 20, v[27:28]
	v_cmp_gt_i32_e32 vcc, 16, v4
	v_cndmask_b32_e32 v24, 0, v24, vcc
	v_cndmask_b32_e32 v23, 7, v23, vcc
	v_cmp_eq_u32_e32 vcc, 0, v4
	v_min_i32_e32 v4, 15, v4
	v_cmp_eq_u64_e64 s[18:19], 0, v[23:24]
	v_lshlrev_b32_e32 v4, 3, v4
	v_and_b32_e32 v4, 0xf8, v4
	v_and_or_b32 v4, v23, 7, v4
	s_and_b64 s[18:19], vcc, s[18:19]
	v_cndmask_b32_e64 v4, v4, 0, s[18:19]
	v_or_b32_e32 v44, v4, v0
.LBB2_353:                              ;   in Loop: Header=BB2_299 Depth=3
	s_or_b64 exec, exec, s[76:77]
                                        ; implicit-def: $vgpr0
.LBB2_354:                              ;   in Loop: Header=BB2_299 Depth=3
	s_andn2_saveexec_b64 s[18:19], s[74:75]
; %bb.355:                              ;   in Loop: Header=BB2_299 Depth=3
	v_or_b32_e32 v44, 0x7e, v0
; %bb.356:                              ;   in Loop: Header=BB2_299 Depth=3
	s_or_b64 exec, exec, s[18:19]
                                        ; implicit-def: $vgpr4
.LBB2_357:                              ;   in Loop: Header=BB2_299 Depth=3
	s_andn2_saveexec_b64 s[18:19], s[72:73]
; %bb.358:                              ;   in Loop: Header=BB2_299 Depth=3
	v_or_b32_sdwa v44, v4, s37 dst_sel:DWORD dst_unused:UNUSED_PAD src0_sel:BYTE_3 src1_sel:DWORD
; %bb.359:                              ;   in Loop: Header=BB2_299 Depth=3
	s_or_b64 exec, exec, s[18:19]
	v_and_b32_sdwa v23, v40, s35 dst_sel:DWORD dst_unused:UNUSED_PAD src0_sel:WORD_1 src1_sel:DWORD
	v_lshrrev_b32_e32 v0, 16, v40
	v_cmp_ne_u16_e32 vcc, 0, v23
	v_mov_b32_e32 v4, 0
	s_and_saveexec_b64 s[18:19], vcc
	s_cbranch_execz .LBB2_365
; %bb.360:                              ;   in Loop: Header=BB2_299 Depth=3
	v_cmp_ne_u16_e32 vcc, s36, v23
	v_bfrev_b32_e32 v4, 1
	s_and_saveexec_b64 s[72:73], vcc
	s_cbranch_execz .LBB2_364
; %bb.361:                              ;   in Loop: Header=BB2_299 Depth=3
	v_bfe_u32 v23, v40, 16, 7
	v_cmp_ne_u32_e32 vcc, s37, v23
	v_mov_b32_e32 v4, 0x7f800001
	s_and_saveexec_b64 s[74:75], vcc
	s_cbranch_execz .LBB2_363
; %bb.362:                              ;   in Loop: Header=BB2_299 Depth=3
	v_and_b32_e32 v4, 7, v0
	v_lshrrev_b32_e32 v27, 3, v23
	v_cmp_gt_u32_e32 vcc, 8, v23
	v_ffbh_u32_e32 v23, v4
	v_min_u32_e32 v28, 32, v23
	v_subrev_u32_e32 v23, 28, v28
	v_lshlrev_b64 v[23:24], v23, v[0:1]
	v_sub_u32_e32 v0, 29, v28
	v_and_b32_e32 v23, 7, v23
	v_cndmask_b32_e32 v0, v27, v0, vcc
	v_cndmask_b32_e32 v4, v4, v23, vcc
	v_lshlrev_b32_sdwa v23, v55, v40 dst_sel:DWORD dst_unused:UNUSED_PAD src0_sel:DWORD src1_sel:WORD_1
	v_lshlrev_b32_e32 v4, 20, v4
	v_and_b32_e32 v23, 0x80000000, v23
	v_lshl_add_u32 v0, v0, 23, v7
	v_or3_b32 v4, v23, v0, v4
.LBB2_363:                              ;   in Loop: Header=BB2_299 Depth=3
	s_or_b64 exec, exec, s[74:75]
.LBB2_364:                              ;   in Loop: Header=BB2_299 Depth=3
	s_or_b64 exec, exec, s[72:73]
.LBB2_365:                              ;   in Loop: Header=BB2_299 Depth=3
	s_or_b64 exec, exec, s[18:19]
	v_mul_f32_e32 v4, v62, v4
	v_and_b32_e32 v23, 0x7f800000, v4
	v_mov_b32_e32 v24, v41
	v_cmp_ne_u64_e32 vcc, s[46:47], v[23:24]
                                        ; implicit-def: $vgpr56
	s_and_saveexec_b64 s[18:19], vcc
	s_xor_b64 s[72:73], exec, s[18:19]
	s_cbranch_execz .LBB2_379
; %bb.366:                              ;   in Loop: Header=BB2_299 Depth=3
	v_and_b32_e32 v23, 0x7fffffff, v4
	v_mov_b32_e32 v24, v41
	v_cmp_gt_u64_e32 vcc, s[56:57], v[23:24]
	v_and_b32_sdwa v0, v4, s36 dst_sel:DWORD dst_unused:UNUSED_PAD src0_sel:BYTE_3 src1_sel:DWORD
                                        ; implicit-def: $vgpr56
	s_and_saveexec_b64 s[18:19], vcc
	s_xor_b64 s[74:75], exec, s[18:19]
	s_cbranch_execz .LBB2_376
; %bb.367:                              ;   in Loop: Header=BB2_299 Depth=3
	v_mov_b32_e32 v56, 0
	v_cmp_ne_u32_e32 vcc, 0, v4
	s_and_saveexec_b64 s[76:77], vcc
	s_cbranch_execz .LBB2_375
; %bb.368:                              ;   in Loop: Header=BB2_299 Depth=3
	v_and_b32_e32 v23, 0x7fffff, v4
	v_bfe_u32 v4, v4, 23, 8
	v_cmp_gt_u32_e64 s[18:19], s38, v4
	v_sub_u32_e32 v24, 0x79, v4
	v_cmp_eq_u32_e32 vcc, 0, v4
	v_cndmask_b32_e64 v24, 0, v24, s[18:19]
	v_or_b32_e32 v27, 0x800000, v23
	v_cndmask_b32_e32 v56, v24, v8, vcc
	v_cndmask_b32_e32 v23, v27, v23, vcc
	v_add_u32_e32 v27, 20, v56
	v_lshlrev_b64 v[27:28], v27, -1
	v_add_u32_e32 v42, 19, v56
	v_lshlrev_b64 v[42:43], v42, 1
	v_mov_b32_e32 v24, v41
	v_bfi_b32 v28, v28, 0, 0
	v_bfi_b32 v27, v27, 0, v23
	v_cmp_eq_u64_e64 s[18:19], v[27:28], v[42:43]
	v_lshrrev_b64 v[27:28], v56, v[23:24]
	v_mov_b32_e32 v43, v28
	v_mov_b32_e32 v42, v27
	s_and_saveexec_b64 s[78:79], s[18:19]
; %bb.369:                              ;   in Loop: Header=BB2_299 Depth=3
	v_bfe_u32 v23, v27, 20, 1
	v_add_co_u32_e64 v23, s[18:19], v27, v23
	v_add_co_u32_e64 v42, s[18:19], -1, v23
; %bb.370:                              ;   in Loop: Header=BB2_299 Depth=3
	s_or_b64 exec, exec, s[78:79]
	v_add_u32_e32 v4, 0xffffff81, v4
	v_cndmask_b32_e32 v4, v4, v54, vcc
	v_lshrrev_b32_e32 v23, 23, v27
	v_add3_u32 v24, v56, v4, v23
	v_add_u32_e32 v23, 6, v24
	v_and_b32_e32 v4, 0xfffff, v42
	v_add_u32_e32 v27, v4, v27
	v_mov_b32_e32 v28, v41
	v_cmp_ne_u32_e32 vcc, 0, v23
                                        ; implicit-def: $vgpr4
	s_and_saveexec_b64 s[18:19], vcc
	s_xor_b64 s[18:19], exec, s[18:19]
; %bb.371:                              ;   in Loop: Header=BB2_299 Depth=3
	v_cmp_lt_u64_e32 vcc, s[58:59], v[27:28]
	v_add_u32_e32 v4, 7, v24
	v_cndmask_b32_e32 v4, v23, v4, vcc
	v_cndmask_b32_e64 v23, 0, 1, vcc
	v_lshrrev_b64 v[27:28], v23, v[27:28]
; %bb.372:                              ;   in Loop: Header=BB2_299 Depth=3
	s_andn2_saveexec_b64 s[18:19], s[18:19]
; %bb.373:                              ;   in Loop: Header=BB2_299 Depth=3
	v_bfe_u32 v4, v27, 23, 1
; %bb.374:                              ;   in Loop: Header=BB2_299 Depth=3
	s_or_b64 exec, exec, s[18:19]
	v_lshrrev_b64 v[23:24], 20, v[27:28]
	v_cmp_gt_i32_e32 vcc, 16, v4
	v_cndmask_b32_e32 v24, 0, v24, vcc
	v_cndmask_b32_e32 v23, 7, v23, vcc
	v_cmp_eq_u32_e32 vcc, 0, v4
	v_min_i32_e32 v4, 15, v4
	v_cmp_eq_u64_e64 s[18:19], 0, v[23:24]
	v_lshlrev_b32_e32 v4, 3, v4
	v_and_b32_e32 v4, 0xf8, v4
	v_and_or_b32 v4, v23, 7, v4
	s_and_b64 s[18:19], vcc, s[18:19]
	v_cndmask_b32_e64 v4, v4, 0, s[18:19]
	v_or_b32_e32 v56, v4, v0
.LBB2_375:                              ;   in Loop: Header=BB2_299 Depth=3
	s_or_b64 exec, exec, s[76:77]
                                        ; implicit-def: $vgpr0
.LBB2_376:                              ;   in Loop: Header=BB2_299 Depth=3
	s_andn2_saveexec_b64 s[18:19], s[74:75]
; %bb.377:                              ;   in Loop: Header=BB2_299 Depth=3
	v_or_b32_e32 v56, 0x7e, v0
; %bb.378:                              ;   in Loop: Header=BB2_299 Depth=3
	s_or_b64 exec, exec, s[18:19]
                                        ; implicit-def: $vgpr4
.LBB2_379:                              ;   in Loop: Header=BB2_299 Depth=3
	s_andn2_saveexec_b64 s[18:19], s[72:73]
; %bb.380:                              ;   in Loop: Header=BB2_299 Depth=3
	v_or_b32_sdwa v56, v4, s37 dst_sel:DWORD dst_unused:UNUSED_PAD src0_sel:BYTE_3 src1_sel:DWORD
; %bb.381:                              ;   in Loop: Header=BB2_299 Depth=3
	s_or_b64 exec, exec, s[18:19]
	v_cmp_lt_u32_e32 vcc, s39, v40
	v_mov_b32_e32 v4, 0
	s_and_saveexec_b64 s[18:19], vcc
	s_cbranch_execz .LBB2_387
; %bb.382:                              ;   in Loop: Header=BB2_299 Depth=3
	v_lshrrev_b32_e32 v0, 24, v40
	v_cmp_ne_u32_sdwa s[74:75], v40, s36 src0_sel:BYTE_3 src1_sel:DWORD
	v_bfrev_b32_e32 v4, 1
	s_and_saveexec_b64 s[72:73], s[74:75]
	s_cbranch_execz .LBB2_386
; %bb.383:                              ;   in Loop: Header=BB2_299 Depth=3
	v_bfe_u32 v23, v40, 24, 7
	v_cmp_ne_u32_e32 vcc, s37, v23
	v_mov_b32_e32 v4, 0x7f800001
	s_and_saveexec_b64 s[74:75], vcc
	s_cbranch_execz .LBB2_385
; %bb.384:                              ;   in Loop: Header=BB2_299 Depth=3
	v_and_b32_e32 v4, 7, v0
	v_lshrrev_b32_e32 v27, 3, v23
	v_cmp_gt_u32_e32 vcc, 8, v23
	v_ffbh_u32_e32 v23, v4
	v_min_u32_e32 v28, 32, v23
	v_subrev_u32_e32 v23, 28, v28
	v_lshlrev_b64 v[23:24], v23, v[0:1]
	v_sub_u32_e32 v0, 29, v28
	v_and_b32_e32 v23, 7, v23
	v_cndmask_b32_e32 v0, v27, v0, vcc
	v_cndmask_b32_e32 v4, v4, v23, vcc
	v_lshlrev_b32_sdwa v23, v55, v40 dst_sel:DWORD dst_unused:UNUSED_PAD src0_sel:DWORD src1_sel:BYTE_3
	v_lshlrev_b32_e32 v4, 20, v4
	v_and_b32_e32 v23, 0x80000000, v23
	v_lshl_add_u32 v0, v0, 23, v7
	v_or3_b32 v4, v23, v0, v4
.LBB2_385:                              ;   in Loop: Header=BB2_299 Depth=3
	s_or_b64 exec, exec, s[74:75]
.LBB2_386:                              ;   in Loop: Header=BB2_299 Depth=3
	s_or_b64 exec, exec, s[72:73]
.LBB2_387:                              ;   in Loop: Header=BB2_299 Depth=3
	s_or_b64 exec, exec, s[18:19]
	v_mul_f32_e32 v27, v62, v4
	v_and_b32_e32 v40, 0x7f800000, v27
	v_cmp_ne_u64_e32 vcc, s[46:47], v[40:41]
                                        ; implicit-def: $vgpr4
	s_and_saveexec_b64 s[18:19], vcc
	s_xor_b64 s[72:73], exec, s[18:19]
	s_cbranch_execz .LBB2_401
; %bb.388:                              ;   in Loop: Header=BB2_299 Depth=3
	v_and_b32_e32 v40, 0x7fffffff, v27
	v_cmp_gt_u64_e32 vcc, s[56:57], v[40:41]
	v_and_b32_sdwa v0, v27, s36 dst_sel:DWORD dst_unused:UNUSED_PAD src0_sel:BYTE_3 src1_sel:DWORD
                                        ; implicit-def: $vgpr4
	s_and_saveexec_b64 s[18:19], vcc
	s_xor_b64 s[74:75], exec, s[18:19]
	s_cbranch_execz .LBB2_398
; %bb.389:                              ;   in Loop: Header=BB2_299 Depth=3
	v_mov_b32_e32 v4, 0
	v_cmp_ne_u32_e32 vcc, 0, v27
	s_and_saveexec_b64 s[76:77], vcc
	s_cbranch_execz .LBB2_397
; %bb.390:                              ;   in Loop: Header=BB2_299 Depth=3
	v_bfe_u32 v4, v27, 23, 8
	v_cmp_gt_u32_e64 s[18:19], s38, v4
	v_sub_u32_e32 v24, 0x79, v4
	v_and_b32_e32 v23, 0x7fffff, v27
	v_cmp_eq_u32_e32 vcc, 0, v4
	v_cndmask_b32_e64 v24, 0, v24, s[18:19]
	v_or_b32_e32 v27, 0x800000, v23
	v_cndmask_b32_e32 v59, v24, v8, vcc
	v_cndmask_b32_e32 v40, v27, v23, vcc
	v_add_u32_e32 v23, 20, v59
	v_lshlrev_b64 v[23:24], v23, -1
	v_add_u32_e32 v27, 19, v59
	v_lshlrev_b64 v[27:28], v27, 1
	v_bfi_b32 v24, v24, 0, 0
	v_bfi_b32 v23, v23, 0, v40
	v_cmp_eq_u64_e64 s[18:19], v[23:24], v[27:28]
	v_lshrrev_b64 v[27:28], v59, v[40:41]
	v_mov_b32_e32 v43, v28
	v_mov_b32_e32 v42, v27
	s_and_saveexec_b64 s[78:79], s[18:19]
; %bb.391:                              ;   in Loop: Header=BB2_299 Depth=3
	v_bfe_u32 v23, v27, 20, 1
	v_add_co_u32_e64 v23, s[18:19], v27, v23
	v_add_co_u32_e64 v42, s[18:19], -1, v23
; %bb.392:                              ;   in Loop: Header=BB2_299 Depth=3
	s_or_b64 exec, exec, s[78:79]
	v_add_u32_e32 v4, 0xffffff81, v4
	v_cndmask_b32_e32 v4, v4, v54, vcc
	v_lshrrev_b32_e32 v23, 23, v27
	v_add3_u32 v24, v59, v4, v23
	v_add_u32_e32 v23, 6, v24
	v_and_b32_e32 v4, 0xfffff, v42
	v_add_u32_e32 v40, v4, v27
	v_cmp_ne_u32_e32 vcc, 0, v23
                                        ; implicit-def: $vgpr27_vgpr28
                                        ; implicit-def: $vgpr4
	s_and_saveexec_b64 s[18:19], vcc
	s_xor_b64 s[18:19], exec, s[18:19]
; %bb.393:                              ;   in Loop: Header=BB2_299 Depth=3
	v_cmp_lt_u64_e32 vcc, s[58:59], v[40:41]
	v_add_u32_e32 v4, 7, v24
	v_cndmask_b32_e32 v4, v23, v4, vcc
	v_cndmask_b32_e64 v23, 0, 1, vcc
	v_lshrrev_b64 v[27:28], v23, v[40:41]
; %bb.394:                              ;   in Loop: Header=BB2_299 Depth=3
	s_andn2_saveexec_b64 s[18:19], s[18:19]
; %bb.395:                              ;   in Loop: Header=BB2_299 Depth=3
	v_mov_b32_e32 v27, v40
	v_bfe_u32 v4, v40, 23, 1
	v_mov_b32_e32 v28, v41
; %bb.396:                              ;   in Loop: Header=BB2_299 Depth=3
	s_or_b64 exec, exec, s[18:19]
	v_lshrrev_b64 v[23:24], 20, v[27:28]
	v_cmp_gt_i32_e32 vcc, 16, v4
	v_cndmask_b32_e32 v24, 0, v24, vcc
	v_cndmask_b32_e32 v23, 7, v23, vcc
	v_cmp_eq_u32_e32 vcc, 0, v4
	v_min_i32_e32 v4, 15, v4
	v_cmp_eq_u64_e64 s[18:19], 0, v[23:24]
	v_lshlrev_b32_e32 v4, 3, v4
	v_and_b32_e32 v4, 0xf8, v4
	v_and_or_b32 v4, v23, 7, v4
	s_and_b64 s[18:19], vcc, s[18:19]
	v_cndmask_b32_e64 v4, v4, 0, s[18:19]
	v_or_b32_e32 v4, v4, v0
.LBB2_397:                              ;   in Loop: Header=BB2_299 Depth=3
	s_or_b64 exec, exec, s[76:77]
                                        ; implicit-def: $vgpr0
.LBB2_398:                              ;   in Loop: Header=BB2_299 Depth=3
	s_andn2_saveexec_b64 s[18:19], s[74:75]
; %bb.399:                              ;   in Loop: Header=BB2_299 Depth=3
	v_or_b32_e32 v4, 0x7e, v0
; %bb.400:                              ;   in Loop: Header=BB2_299 Depth=3
	s_or_b64 exec, exec, s[18:19]
                                        ; implicit-def: $vgpr27
.LBB2_401:                              ;   in Loop: Header=BB2_299 Depth=3
	s_andn2_saveexec_b64 s[18:19], s[72:73]
; %bb.402:                              ;   in Loop: Header=BB2_299 Depth=3
	v_or_b32_sdwa v4, v27, s37 dst_sel:DWORD dst_unused:UNUSED_PAD src0_sel:BYTE_3 src1_sel:DWORD
; %bb.403:                              ;   in Loop: Header=BB2_299 Depth=3
	s_or_b64 exec, exec, s[18:19]
	v_alignbit_b32 v40, v31, v45, v57
	v_cmp_ne_u16_sdwa s[72:73], v40, v41 src0_sel:BYTE_0 src1_sel:DWORD
	v_mov_b32_e32 v0, 0
	s_and_saveexec_b64 s[18:19], s[72:73]
	s_cbranch_execz .LBB2_409
; %bb.404:                              ;   in Loop: Header=BB2_299 Depth=3
	v_cmp_ne_u16_sdwa s[74:75], v40, s36 src0_sel:BYTE_0 src1_sel:DWORD
	v_bfrev_b32_e32 v0, 1
	s_and_saveexec_b64 s[72:73], s[74:75]
	s_cbranch_execz .LBB2_408
; %bb.405:                              ;   in Loop: Header=BB2_299 Depth=3
	v_and_b32_e32 v23, 0x7f, v40
	v_cmp_ne_u32_e32 vcc, s37, v23
	v_mov_b32_e32 v0, 0x7f800001
	s_and_saveexec_b64 s[74:75], vcc
	s_cbranch_execz .LBB2_407
; %bb.406:                              ;   in Loop: Header=BB2_299 Depth=3
	v_and_b32_e32 v0, 7, v40
	v_ffbh_u32_e32 v0, v0
	v_min_u32_e32 v0, 32, v0
	v_lshrrev_b32_e32 v24, 3, v23
	v_cmp_gt_u32_e32 vcc, 8, v23
	v_subrev_u32_e32 v23, 28, v0
	v_sub_u32_e32 v0, 29, v0
	v_cndmask_b32_e32 v23, 0, v23, vcc
	v_cndmask_b32_e32 v0, v24, v0, vcc
	v_lshlrev_b64 v[23:24], v23, v[40:41]
	v_lshlrev_b32_e32 v24, 24, v40
	v_lshlrev_b32_e32 v23, 20, v23
	v_and_b32_e32 v23, 0x700000, v23
	v_and_b32_e32 v24, 0x80000000, v24
	v_lshl_add_u32 v0, v0, 23, v7
	v_or3_b32 v0, v24, v0, v23
.LBB2_407:                              ;   in Loop: Header=BB2_299 Depth=3
	s_or_b64 exec, exec, s[74:75]
.LBB2_408:                              ;   in Loop: Header=BB2_299 Depth=3
	s_or_b64 exec, exec, s[72:73]
.LBB2_409:                              ;   in Loop: Header=BB2_299 Depth=3
	s_or_b64 exec, exec, s[18:19]
	v_mul_f32_e32 v27, v62, v0
	v_and_b32_e32 v23, 0x7f800000, v27
	v_mov_b32_e32 v24, v41
	v_cmp_ne_u64_e32 vcc, s[46:47], v[23:24]
                                        ; implicit-def: $vgpr59
	s_and_saveexec_b64 s[18:19], vcc
	s_xor_b64 s[72:73], exec, s[18:19]
	s_cbranch_execz .LBB2_423
; %bb.410:                              ;   in Loop: Header=BB2_299 Depth=3
	v_and_b32_e32 v23, 0x7fffffff, v27
	v_mov_b32_e32 v24, v41
	v_cmp_gt_u64_e32 vcc, s[56:57], v[23:24]
	v_and_b32_sdwa v0, v27, s36 dst_sel:DWORD dst_unused:UNUSED_PAD src0_sel:BYTE_3 src1_sel:DWORD
                                        ; implicit-def: $vgpr59
	s_and_saveexec_b64 s[18:19], vcc
	s_xor_b64 s[74:75], exec, s[18:19]
	s_cbranch_execz .LBB2_420
; %bb.411:                              ;   in Loop: Header=BB2_299 Depth=3
	v_mov_b32_e32 v59, 0
	v_cmp_ne_u32_e32 vcc, 0, v27
	s_and_saveexec_b64 s[76:77], vcc
	s_cbranch_execz .LBB2_419
; %bb.412:                              ;   in Loop: Header=BB2_299 Depth=3
	v_bfe_u32 v31, v27, 23, 8
	v_cmp_gt_u32_e64 s[18:19], s38, v31
	v_sub_u32_e32 v24, 0x79, v31
	v_and_b32_e32 v23, 0x7fffff, v27
	v_cmp_eq_u32_e32 vcc, 0, v31
	v_cndmask_b32_e64 v24, 0, v24, s[18:19]
	v_or_b32_e32 v27, 0x800000, v23
	v_cndmask_b32_e32 v45, v24, v8, vcc
	v_cndmask_b32_e32 v23, v27, v23, vcc
	v_add_u32_e32 v27, 20, v45
	v_lshlrev_b64 v[27:28], v27, -1
	v_add_u32_e32 v42, 19, v45
	v_lshlrev_b64 v[42:43], v42, 1
	v_mov_b32_e32 v24, v41
	v_bfi_b32 v28, v28, 0, 0
	v_bfi_b32 v27, v27, 0, v23
	v_cmp_eq_u64_e64 s[18:19], v[27:28], v[42:43]
	v_lshrrev_b64 v[27:28], v45, v[23:24]
	v_mov_b32_e32 v43, v28
	v_mov_b32_e32 v42, v27
	s_and_saveexec_b64 s[78:79], s[18:19]
; %bb.413:                              ;   in Loop: Header=BB2_299 Depth=3
	v_bfe_u32 v23, v27, 20, 1
	v_add_co_u32_e64 v23, s[18:19], v27, v23
	v_add_co_u32_e64 v42, s[18:19], -1, v23
; %bb.414:                              ;   in Loop: Header=BB2_299 Depth=3
	s_or_b64 exec, exec, s[78:79]
	v_add_u32_e32 v23, 0xffffff81, v31
	v_cndmask_b32_e32 v23, v23, v54, vcc
	v_lshrrev_b32_e32 v24, 23, v27
	v_add3_u32 v24, v45, v23, v24
	v_add_u32_e32 v23, 6, v24
	v_and_b32_e32 v28, 0xfffff, v42
	v_add_u32_e32 v27, v28, v27
	v_mov_b32_e32 v28, v41
	v_cmp_ne_u32_e32 vcc, 0, v23
                                        ; implicit-def: $vgpr31
	s_and_saveexec_b64 s[18:19], vcc
	s_xor_b64 s[18:19], exec, s[18:19]
; %bb.415:                              ;   in Loop: Header=BB2_299 Depth=3
	v_cmp_lt_u64_e32 vcc, s[58:59], v[27:28]
	v_add_u32_e32 v24, 7, v24
	v_cndmask_b32_e32 v31, v23, v24, vcc
	v_cndmask_b32_e64 v23, 0, 1, vcc
	v_lshrrev_b64 v[27:28], v23, v[27:28]
; %bb.416:                              ;   in Loop: Header=BB2_299 Depth=3
	s_andn2_saveexec_b64 s[18:19], s[18:19]
; %bb.417:                              ;   in Loop: Header=BB2_299 Depth=3
	v_bfe_u32 v31, v27, 23, 1
; %bb.418:                              ;   in Loop: Header=BB2_299 Depth=3
	s_or_b64 exec, exec, s[18:19]
	v_lshrrev_b64 v[23:24], 20, v[27:28]
	v_cmp_gt_i32_e32 vcc, 16, v31
	v_cndmask_b32_e32 v24, 0, v24, vcc
	v_cndmask_b32_e32 v23, 7, v23, vcc
	v_cmp_eq_u64_e64 s[18:19], 0, v[23:24]
	v_min_i32_e32 v24, 15, v31
	v_lshlrev_b32_e32 v24, 3, v24
	v_cmp_eq_u32_e32 vcc, 0, v31
	v_and_b32_e32 v24, 0xf8, v24
	v_and_or_b32 v23, v23, 7, v24
	s_and_b64 s[18:19], vcc, s[18:19]
	v_cndmask_b32_e64 v23, v23, 0, s[18:19]
	v_or_b32_e32 v59, v23, v0
.LBB2_419:                              ;   in Loop: Header=BB2_299 Depth=3
	s_or_b64 exec, exec, s[76:77]
                                        ; implicit-def: $vgpr0
.LBB2_420:                              ;   in Loop: Header=BB2_299 Depth=3
	s_andn2_saveexec_b64 s[18:19], s[74:75]
; %bb.421:                              ;   in Loop: Header=BB2_299 Depth=3
	v_or_b32_e32 v59, 0x7e, v0
; %bb.422:                              ;   in Loop: Header=BB2_299 Depth=3
	s_or_b64 exec, exec, s[18:19]
                                        ; implicit-def: $vgpr27
.LBB2_423:                              ;   in Loop: Header=BB2_299 Depth=3
	s_andn2_saveexec_b64 s[18:19], s[72:73]
; %bb.424:                              ;   in Loop: Header=BB2_299 Depth=3
	v_or_b32_sdwa v59, v27, s37 dst_sel:DWORD dst_unused:UNUSED_PAD src0_sel:BYTE_3 src1_sel:DWORD
; %bb.425:                              ;   in Loop: Header=BB2_299 Depth=3
	s_or_b64 exec, exec, s[18:19]
	v_lshrrev_b16_e32 v0, 8, v40
	v_cmp_ne_u16_e32 vcc, 0, v0
	v_mov_b32_e32 v23, 0
	s_and_saveexec_b64 s[18:19], vcc
	s_cbranch_execz .LBB2_431
; %bb.426:                              ;   in Loop: Header=BB2_299 Depth=3
	v_cmp_ne_u16_e32 vcc, s36, v0
	v_bfrev_b32_e32 v23, 1
	s_and_saveexec_b64 s[72:73], vcc
	s_cbranch_execz .LBB2_430
; %bb.427:                              ;   in Loop: Header=BB2_299 Depth=3
	v_and_b32_e32 v24, 0x7f, v0
	v_cmp_ne_u32_e32 vcc, s37, v24
	v_mov_b32_e32 v23, 0x7f800001
	s_and_saveexec_b64 s[74:75], vcc
	s_cbranch_execz .LBB2_429
; %bb.428:                              ;   in Loop: Header=BB2_299 Depth=3
	v_and_b32_e32 v27, 7, v0
	v_ffbh_u32_e32 v23, v27
	v_min_u32_e32 v31, 32, v23
	v_subrev_u32_e32 v23, 28, v31
	v_lshrrev_b32_e32 v28, 3, v24
	v_cmp_gt_u32_e32 vcc, 8, v24
	v_lshlrev_b64 v[23:24], v23, v[0:1]
	v_sub_u32_e32 v0, 29, v31
	v_and_b32_e32 v23, 7, v23
	v_cndmask_b32_e32 v0, v28, v0, vcc
	v_cndmask_b32_e32 v23, v27, v23, vcc
	v_lshlrev_b32_e32 v24, 16, v40
	v_lshlrev_b32_e32 v23, 20, v23
	v_and_b32_e32 v24, 0x80000000, v24
	v_lshl_add_u32 v0, v0, 23, v7
	v_or3_b32 v23, v24, v0, v23
.LBB2_429:                              ;   in Loop: Header=BB2_299 Depth=3
	s_or_b64 exec, exec, s[74:75]
.LBB2_430:                              ;   in Loop: Header=BB2_299 Depth=3
	s_or_b64 exec, exec, s[72:73]
.LBB2_431:                              ;   in Loop: Header=BB2_299 Depth=3
	s_or_b64 exec, exec, s[18:19]
	v_mul_f32_e32 v27, v62, v23
	v_and_b32_e32 v23, 0x7f800000, v27
	v_mov_b32_e32 v24, v41
	v_cmp_ne_u64_e32 vcc, s[46:47], v[23:24]
                                        ; implicit-def: $vgpr45
	s_and_saveexec_b64 s[18:19], vcc
	s_xor_b64 s[72:73], exec, s[18:19]
	s_cbranch_execz .LBB2_445
; %bb.432:                              ;   in Loop: Header=BB2_299 Depth=3
	v_and_b32_e32 v23, 0x7fffffff, v27
	v_mov_b32_e32 v24, v41
	v_cmp_gt_u64_e32 vcc, s[56:57], v[23:24]
	v_and_b32_sdwa v0, v27, s36 dst_sel:DWORD dst_unused:UNUSED_PAD src0_sel:BYTE_3 src1_sel:DWORD
                                        ; implicit-def: $vgpr45
	s_and_saveexec_b64 s[18:19], vcc
	s_xor_b64 s[74:75], exec, s[18:19]
	s_cbranch_execz .LBB2_442
; %bb.433:                              ;   in Loop: Header=BB2_299 Depth=3
	v_mov_b32_e32 v45, 0
	v_cmp_ne_u32_e32 vcc, 0, v27
	s_and_saveexec_b64 s[76:77], vcc
	s_cbranch_execz .LBB2_441
; %bb.434:                              ;   in Loop: Header=BB2_299 Depth=3
	v_bfe_u32 v31, v27, 23, 8
	v_cmp_gt_u32_e64 s[18:19], s38, v31
	v_sub_u32_e32 v24, 0x79, v31
	v_and_b32_e32 v23, 0x7fffff, v27
	v_cmp_eq_u32_e32 vcc, 0, v31
	v_cndmask_b32_e64 v24, 0, v24, s[18:19]
	v_or_b32_e32 v27, 0x800000, v23
	v_cndmask_b32_e32 v45, v24, v8, vcc
	v_cndmask_b32_e32 v23, v27, v23, vcc
	v_add_u32_e32 v27, 20, v45
	v_lshlrev_b64 v[27:28], v27, -1
	v_add_u32_e32 v42, 19, v45
	v_lshlrev_b64 v[42:43], v42, 1
	v_mov_b32_e32 v24, v41
	v_bfi_b32 v28, v28, 0, 0
	v_bfi_b32 v27, v27, 0, v23
	v_cmp_eq_u64_e64 s[18:19], v[27:28], v[42:43]
	v_lshrrev_b64 v[27:28], v45, v[23:24]
	v_mov_b32_e32 v43, v28
	v_mov_b32_e32 v42, v27
	s_and_saveexec_b64 s[78:79], s[18:19]
; %bb.435:                              ;   in Loop: Header=BB2_299 Depth=3
	v_bfe_u32 v23, v27, 20, 1
	v_add_co_u32_e64 v23, s[18:19], v27, v23
	v_add_co_u32_e64 v42, s[18:19], -1, v23
; %bb.436:                              ;   in Loop: Header=BB2_299 Depth=3
	s_or_b64 exec, exec, s[78:79]
	v_add_u32_e32 v23, 0xffffff81, v31
	v_cndmask_b32_e32 v23, v23, v54, vcc
	v_lshrrev_b32_e32 v24, 23, v27
	v_add3_u32 v24, v45, v23, v24
	v_add_u32_e32 v23, 6, v24
	v_and_b32_e32 v28, 0xfffff, v42
	v_add_u32_e32 v27, v28, v27
	v_mov_b32_e32 v28, v41
	v_cmp_ne_u32_e32 vcc, 0, v23
                                        ; implicit-def: $vgpr31
	s_and_saveexec_b64 s[18:19], vcc
	s_xor_b64 s[18:19], exec, s[18:19]
; %bb.437:                              ;   in Loop: Header=BB2_299 Depth=3
	v_cmp_lt_u64_e32 vcc, s[58:59], v[27:28]
	v_add_u32_e32 v24, 7, v24
	v_cndmask_b32_e32 v31, v23, v24, vcc
	v_cndmask_b32_e64 v23, 0, 1, vcc
	v_lshrrev_b64 v[27:28], v23, v[27:28]
; %bb.438:                              ;   in Loop: Header=BB2_299 Depth=3
	s_andn2_saveexec_b64 s[18:19], s[18:19]
; %bb.439:                              ;   in Loop: Header=BB2_299 Depth=3
	v_bfe_u32 v31, v27, 23, 1
; %bb.440:                              ;   in Loop: Header=BB2_299 Depth=3
	s_or_b64 exec, exec, s[18:19]
	v_lshrrev_b64 v[23:24], 20, v[27:28]
	v_cmp_gt_i32_e32 vcc, 16, v31
	v_cndmask_b32_e32 v24, 0, v24, vcc
	v_cndmask_b32_e32 v23, 7, v23, vcc
	v_cmp_eq_u64_e64 s[18:19], 0, v[23:24]
	v_min_i32_e32 v24, 15, v31
	v_lshlrev_b32_e32 v24, 3, v24
	v_cmp_eq_u32_e32 vcc, 0, v31
	v_and_b32_e32 v24, 0xf8, v24
	v_and_or_b32 v23, v23, 7, v24
	s_and_b64 s[18:19], vcc, s[18:19]
	v_cndmask_b32_e64 v23, v23, 0, s[18:19]
	v_or_b32_e32 v45, v23, v0
.LBB2_441:                              ;   in Loop: Header=BB2_299 Depth=3
	s_or_b64 exec, exec, s[76:77]
                                        ; implicit-def: $vgpr0
.LBB2_442:                              ;   in Loop: Header=BB2_299 Depth=3
	s_andn2_saveexec_b64 s[18:19], s[74:75]
; %bb.443:                              ;   in Loop: Header=BB2_299 Depth=3
	v_or_b32_e32 v45, 0x7e, v0
; %bb.444:                              ;   in Loop: Header=BB2_299 Depth=3
	s_or_b64 exec, exec, s[18:19]
                                        ; implicit-def: $vgpr27
.LBB2_445:                              ;   in Loop: Header=BB2_299 Depth=3
	s_andn2_saveexec_b64 s[18:19], s[72:73]
; %bb.446:                              ;   in Loop: Header=BB2_299 Depth=3
	v_or_b32_sdwa v45, v27, s37 dst_sel:DWORD dst_unused:UNUSED_PAD src0_sel:BYTE_3 src1_sel:DWORD
; %bb.447:                              ;   in Loop: Header=BB2_299 Depth=3
	s_or_b64 exec, exec, s[18:19]
	v_and_b32_sdwa v24, v40, s35 dst_sel:DWORD dst_unused:UNUSED_PAD src0_sel:WORD_1 src1_sel:DWORD
	v_lshrrev_b32_e32 v0, 16, v40
	v_cmp_ne_u16_e32 vcc, 0, v24
	v_mov_b32_e32 v23, 0
	s_and_saveexec_b64 s[18:19], vcc
	s_cbranch_execz .LBB2_453
; %bb.448:                              ;   in Loop: Header=BB2_299 Depth=3
	v_cmp_ne_u16_e32 vcc, s36, v24
	v_bfrev_b32_e32 v23, 1
	s_and_saveexec_b64 s[72:73], vcc
	s_cbranch_execz .LBB2_452
; %bb.449:                              ;   in Loop: Header=BB2_299 Depth=3
	v_bfe_u32 v24, v40, 16, 7
	v_cmp_ne_u32_e32 vcc, s37, v24
	v_mov_b32_e32 v23, 0x7f800001
	s_and_saveexec_b64 s[74:75], vcc
	s_cbranch_execz .LBB2_451
; %bb.450:                              ;   in Loop: Header=BB2_299 Depth=3
	v_and_b32_e32 v27, 7, v0
	v_ffbh_u32_e32 v23, v27
	v_min_u32_e32 v31, 32, v23
	v_subrev_u32_e32 v23, 28, v31
	v_lshrrev_b32_e32 v28, 3, v24
	v_cmp_gt_u32_e32 vcc, 8, v24
	v_lshlrev_b64 v[23:24], v23, v[0:1]
	v_sub_u32_e32 v0, 29, v31
	v_and_b32_e32 v23, 7, v23
	v_cndmask_b32_e32 v0, v28, v0, vcc
	v_cndmask_b32_e32 v23, v27, v23, vcc
	v_lshlrev_b32_sdwa v24, v55, v40 dst_sel:DWORD dst_unused:UNUSED_PAD src0_sel:DWORD src1_sel:WORD_1
	v_lshlrev_b32_e32 v23, 20, v23
	v_and_b32_e32 v24, 0x80000000, v24
	v_lshl_add_u32 v0, v0, 23, v7
	v_or3_b32 v23, v24, v0, v23
.LBB2_451:                              ;   in Loop: Header=BB2_299 Depth=3
	s_or_b64 exec, exec, s[74:75]
.LBB2_452:                              ;   in Loop: Header=BB2_299 Depth=3
	s_or_b64 exec, exec, s[72:73]
.LBB2_453:                              ;   in Loop: Header=BB2_299 Depth=3
	s_or_b64 exec, exec, s[18:19]
	v_mul_f32_e32 v27, v62, v23
	v_and_b32_e32 v23, 0x7f800000, v27
	v_mov_b32_e32 v24, v41
	v_cmp_ne_u64_e32 vcc, s[46:47], v[23:24]
                                        ; implicit-def: $vgpr31
	s_and_saveexec_b64 s[18:19], vcc
	s_xor_b64 s[72:73], exec, s[18:19]
	s_cbranch_execz .LBB2_467
; %bb.454:                              ;   in Loop: Header=BB2_299 Depth=3
	v_and_b32_e32 v23, 0x7fffffff, v27
	v_mov_b32_e32 v24, v41
	v_cmp_gt_u64_e32 vcc, s[56:57], v[23:24]
	v_and_b32_sdwa v0, v27, s36 dst_sel:DWORD dst_unused:UNUSED_PAD src0_sel:BYTE_3 src1_sel:DWORD
                                        ; implicit-def: $vgpr31
	s_and_saveexec_b64 s[18:19], vcc
	s_xor_b64 s[74:75], exec, s[18:19]
	s_cbranch_execz .LBB2_464
; %bb.455:                              ;   in Loop: Header=BB2_299 Depth=3
	v_mov_b32_e32 v31, 0
	v_cmp_ne_u32_e32 vcc, 0, v27
	s_and_saveexec_b64 s[76:77], vcc
	s_cbranch_execz .LBB2_463
; %bb.456:                              ;   in Loop: Header=BB2_299 Depth=3
	v_bfe_u32 v31, v27, 23, 8
	v_cmp_gt_u32_e64 s[18:19], s38, v31
	v_sub_u32_e32 v24, 0x79, v31
	v_and_b32_e32 v23, 0x7fffff, v27
	v_cmp_eq_u32_e32 vcc, 0, v31
	v_cndmask_b32_e64 v24, 0, v24, s[18:19]
	v_or_b32_e32 v27, 0x800000, v23
	v_cndmask_b32_e32 v57, v24, v8, vcc
	v_cndmask_b32_e32 v23, v27, v23, vcc
	v_add_u32_e32 v27, 20, v57
	v_lshlrev_b64 v[27:28], v27, -1
	v_add_u32_e32 v42, 19, v57
	v_lshlrev_b64 v[42:43], v42, 1
	v_mov_b32_e32 v24, v41
	v_bfi_b32 v28, v28, 0, 0
	v_bfi_b32 v27, v27, 0, v23
	v_cmp_eq_u64_e64 s[18:19], v[27:28], v[42:43]
	v_lshrrev_b64 v[27:28], v57, v[23:24]
	v_mov_b32_e32 v43, v28
	v_mov_b32_e32 v42, v27
	s_and_saveexec_b64 s[78:79], s[18:19]
; %bb.457:                              ;   in Loop: Header=BB2_299 Depth=3
	v_bfe_u32 v23, v27, 20, 1
	v_add_co_u32_e64 v23, s[18:19], v27, v23
	v_add_co_u32_e64 v42, s[18:19], -1, v23
; %bb.458:                              ;   in Loop: Header=BB2_299 Depth=3
	s_or_b64 exec, exec, s[78:79]
	v_add_u32_e32 v23, 0xffffff81, v31
	v_cndmask_b32_e32 v23, v23, v54, vcc
	v_lshrrev_b32_e32 v24, 23, v27
	v_add3_u32 v24, v57, v23, v24
	v_add_u32_e32 v23, 6, v24
	v_and_b32_e32 v28, 0xfffff, v42
	v_add_u32_e32 v27, v28, v27
	v_mov_b32_e32 v28, v41
	v_cmp_ne_u32_e32 vcc, 0, v23
                                        ; implicit-def: $vgpr31
	s_and_saveexec_b64 s[18:19], vcc
	s_xor_b64 s[18:19], exec, s[18:19]
; %bb.459:                              ;   in Loop: Header=BB2_299 Depth=3
	v_cmp_lt_u64_e32 vcc, s[58:59], v[27:28]
	v_add_u32_e32 v24, 7, v24
	v_cndmask_b32_e32 v31, v23, v24, vcc
	v_cndmask_b32_e64 v23, 0, 1, vcc
	v_lshrrev_b64 v[27:28], v23, v[27:28]
; %bb.460:                              ;   in Loop: Header=BB2_299 Depth=3
	s_andn2_saveexec_b64 s[18:19], s[18:19]
; %bb.461:                              ;   in Loop: Header=BB2_299 Depth=3
	v_bfe_u32 v31, v27, 23, 1
; %bb.462:                              ;   in Loop: Header=BB2_299 Depth=3
	s_or_b64 exec, exec, s[18:19]
	v_lshrrev_b64 v[23:24], 20, v[27:28]
	v_cmp_gt_i32_e32 vcc, 16, v31
	v_cndmask_b32_e32 v24, 0, v24, vcc
	v_cndmask_b32_e32 v23, 7, v23, vcc
	v_cmp_eq_u64_e64 s[18:19], 0, v[23:24]
	v_min_i32_e32 v24, 15, v31
	v_lshlrev_b32_e32 v24, 3, v24
	v_cmp_eq_u32_e32 vcc, 0, v31
	v_and_b32_e32 v24, 0xf8, v24
	v_and_or_b32 v23, v23, 7, v24
	s_and_b64 s[18:19], vcc, s[18:19]
	v_cndmask_b32_e64 v23, v23, 0, s[18:19]
	v_or_b32_e32 v31, v23, v0
.LBB2_463:                              ;   in Loop: Header=BB2_299 Depth=3
	s_or_b64 exec, exec, s[76:77]
                                        ; implicit-def: $vgpr0
.LBB2_464:                              ;   in Loop: Header=BB2_299 Depth=3
	s_andn2_saveexec_b64 s[18:19], s[74:75]
; %bb.465:                              ;   in Loop: Header=BB2_299 Depth=3
	v_or_b32_e32 v31, 0x7e, v0
; %bb.466:                              ;   in Loop: Header=BB2_299 Depth=3
	s_or_b64 exec, exec, s[18:19]
                                        ; implicit-def: $vgpr27
.LBB2_467:                              ;   in Loop: Header=BB2_299 Depth=3
	s_andn2_saveexec_b64 s[18:19], s[72:73]
; %bb.468:                              ;   in Loop: Header=BB2_299 Depth=3
	v_or_b32_sdwa v31, v27, s37 dst_sel:DWORD dst_unused:UNUSED_PAD src0_sel:BYTE_3 src1_sel:DWORD
; %bb.469:                              ;   in Loop: Header=BB2_299 Depth=3
	s_or_b64 exec, exec, s[18:19]
	v_cmp_lt_u32_e32 vcc, s39, v40
	v_mov_b32_e32 v23, 0
	s_and_saveexec_b64 s[18:19], vcc
	s_cbranch_execz .LBB2_475
; %bb.470:                              ;   in Loop: Header=BB2_299 Depth=3
	v_lshrrev_b32_e32 v0, 24, v40
	v_cmp_ne_u32_sdwa s[74:75], v40, s36 src0_sel:BYTE_3 src1_sel:DWORD
	v_bfrev_b32_e32 v23, 1
	s_and_saveexec_b64 s[72:73], s[74:75]
	s_cbranch_execz .LBB2_474
; %bb.471:                              ;   in Loop: Header=BB2_299 Depth=3
	v_bfe_u32 v24, v40, 24, 7
	v_cmp_ne_u32_e32 vcc, s37, v24
	v_mov_b32_e32 v23, 0x7f800001
	s_and_saveexec_b64 s[74:75], vcc
	s_cbranch_execz .LBB2_473
; %bb.472:                              ;   in Loop: Header=BB2_299 Depth=3
	v_and_b32_e32 v27, 7, v0
	v_ffbh_u32_e32 v23, v27
	v_min_u32_e32 v42, 32, v23
	v_subrev_u32_e32 v23, 28, v42
	v_lshrrev_b32_e32 v28, 3, v24
	v_cmp_gt_u32_e32 vcc, 8, v24
	v_lshlrev_b64 v[23:24], v23, v[0:1]
	v_sub_u32_e32 v0, 29, v42
	v_and_b32_e32 v23, 7, v23
	v_cndmask_b32_e32 v0, v28, v0, vcc
	v_cndmask_b32_e32 v23, v27, v23, vcc
	v_lshlrev_b32_sdwa v24, v55, v40 dst_sel:DWORD dst_unused:UNUSED_PAD src0_sel:DWORD src1_sel:BYTE_3
	v_lshlrev_b32_e32 v23, 20, v23
	v_and_b32_e32 v24, 0x80000000, v24
	v_lshl_add_u32 v0, v0, 23, v7
	v_or3_b32 v23, v24, v0, v23
.LBB2_473:                              ;   in Loop: Header=BB2_299 Depth=3
	s_or_b64 exec, exec, s[74:75]
.LBB2_474:                              ;   in Loop: Header=BB2_299 Depth=3
	s_or_b64 exec, exec, s[72:73]
.LBB2_475:                              ;   in Loop: Header=BB2_299 Depth=3
	s_or_b64 exec, exec, s[18:19]
	v_mul_f32_e32 v27, v62, v23
	v_and_b32_e32 v40, 0x7f800000, v27
	v_cmp_ne_u64_e32 vcc, s[46:47], v[40:41]
                                        ; implicit-def: $vgpr57
	s_and_saveexec_b64 s[18:19], vcc
	s_xor_b64 s[72:73], exec, s[18:19]
	s_cbranch_execz .LBB2_489
; %bb.476:                              ;   in Loop: Header=BB2_299 Depth=3
	v_and_b32_e32 v40, 0x7fffffff, v27
	v_cmp_gt_u64_e32 vcc, s[56:57], v[40:41]
	v_and_b32_sdwa v0, v27, s36 dst_sel:DWORD dst_unused:UNUSED_PAD src0_sel:BYTE_3 src1_sel:DWORD
                                        ; implicit-def: $vgpr57
	s_and_saveexec_b64 s[18:19], vcc
	s_xor_b64 s[74:75], exec, s[18:19]
	s_cbranch_execz .LBB2_486
; %bb.477:                              ;   in Loop: Header=BB2_299 Depth=3
	v_mov_b32_e32 v57, 0
	v_cmp_ne_u32_e32 vcc, 0, v27
	s_and_saveexec_b64 s[76:77], vcc
	s_cbranch_execz .LBB2_485
; %bb.478:                              ;   in Loop: Header=BB2_299 Depth=3
	v_bfe_u32 v57, v27, 23, 8
	v_cmp_gt_u32_e64 s[18:19], s38, v57
	v_sub_u32_e32 v23, 0x79, v57
	v_and_b32_e32 v24, 0x7fffff, v27
	v_cmp_eq_u32_e32 vcc, 0, v57
	v_cndmask_b32_e64 v23, 0, v23, s[18:19]
	v_or_b32_e32 v27, 0x800000, v24
	v_cndmask_b32_e32 v23, v23, v8, vcc
	v_cndmask_b32_e32 v40, v27, v24, vcc
	v_add_u32_e32 v24, 20, v23
	v_lshlrev_b64 v[27:28], v24, -1
	v_add_u32_e32 v24, 19, v23
	v_lshlrev_b64 v[42:43], v24, 1
	v_bfi_b32 v28, v28, 0, 0
	v_bfi_b32 v27, v27, 0, v40
	v_cmp_eq_u64_e64 s[18:19], v[27:28], v[42:43]
	v_lshrrev_b64 v[27:28], v23, v[40:41]
	v_mov_b32_e32 v43, v28
	v_mov_b32_e32 v42, v27
	s_and_saveexec_b64 s[78:79], s[18:19]
; %bb.479:                              ;   in Loop: Header=BB2_299 Depth=3
	v_bfe_u32 v24, v27, 20, 1
	v_add_co_u32_e64 v24, s[18:19], v27, v24
	v_add_co_u32_e64 v42, s[18:19], -1, v24
; %bb.480:                              ;   in Loop: Header=BB2_299 Depth=3
	s_or_b64 exec, exec, s[78:79]
	v_add_u32_e32 v24, 0xffffff81, v57
	v_cndmask_b32_e32 v24, v24, v54, vcc
	v_lshrrev_b32_e32 v28, 23, v27
	v_add3_u32 v24, v23, v24, v28
	v_add_u32_e32 v23, 6, v24
	v_and_b32_e32 v28, 0xfffff, v42
	v_add_u32_e32 v40, v28, v27
	v_cmp_ne_u32_e32 vcc, 0, v23
                                        ; implicit-def: $vgpr27_vgpr28
                                        ; implicit-def: $vgpr42
	s_and_saveexec_b64 s[18:19], vcc
	s_xor_b64 s[18:19], exec, s[18:19]
; %bb.481:                              ;   in Loop: Header=BB2_299 Depth=3
	v_cmp_lt_u64_e32 vcc, s[58:59], v[40:41]
	v_add_u32_e32 v24, 7, v24
	v_cndmask_b32_e32 v42, v23, v24, vcc
	v_cndmask_b32_e64 v23, 0, 1, vcc
	v_lshrrev_b64 v[27:28], v23, v[40:41]
; %bb.482:                              ;   in Loop: Header=BB2_299 Depth=3
	s_andn2_saveexec_b64 s[18:19], s[18:19]
; %bb.483:                              ;   in Loop: Header=BB2_299 Depth=3
	v_mov_b32_e32 v27, v40
	v_bfe_u32 v42, v40, 23, 1
	v_mov_b32_e32 v28, v41
; %bb.484:                              ;   in Loop: Header=BB2_299 Depth=3
	s_or_b64 exec, exec, s[18:19]
	v_lshrrev_b64 v[23:24], 20, v[27:28]
	v_cmp_gt_i32_e32 vcc, 16, v42
	v_cndmask_b32_e32 v24, 0, v24, vcc
	v_cndmask_b32_e32 v23, 7, v23, vcc
	v_cmp_eq_u64_e64 s[18:19], 0, v[23:24]
	v_min_i32_e32 v24, 15, v42
	v_lshlrev_b32_e32 v24, 3, v24
	v_cmp_eq_u32_e32 vcc, 0, v42
	v_and_b32_e32 v24, 0xf8, v24
	v_and_or_b32 v23, v23, 7, v24
	s_and_b64 s[18:19], vcc, s[18:19]
	v_cndmask_b32_e64 v23, v23, 0, s[18:19]
	v_or_b32_e32 v57, v23, v0
.LBB2_485:                              ;   in Loop: Header=BB2_299 Depth=3
	s_or_b64 exec, exec, s[76:77]
                                        ; implicit-def: $vgpr0
.LBB2_486:                              ;   in Loop: Header=BB2_299 Depth=3
	s_andn2_saveexec_b64 s[18:19], s[74:75]
; %bb.487:                              ;   in Loop: Header=BB2_299 Depth=3
	v_or_b32_e32 v57, 0x7e, v0
; %bb.488:                              ;   in Loop: Header=BB2_299 Depth=3
	s_or_b64 exec, exec, s[18:19]
                                        ; implicit-def: $vgpr27
.LBB2_489:                              ;   in Loop: Header=BB2_299 Depth=3
	s_andn2_saveexec_b64 s[18:19], s[72:73]
; %bb.490:                              ;   in Loop: Header=BB2_299 Depth=3
	v_or_b32_sdwa v57, v27, s37 dst_sel:DWORD dst_unused:UNUSED_PAD src0_sel:BYTE_3 src1_sel:DWORD
; %bb.491:                              ;   in Loop: Header=BB2_299 Depth=3
	s_or_b64 exec, exec, s[18:19]
	s_waitcnt vmcnt(0)
	v_cmp_ne_u16_sdwa s[72:73], v19, v41 src0_sel:BYTE_0 src1_sel:DWORD
	v_mov_b32_e32 v0, 0
	v_mov_b32_e32 v27, 0
	s_and_saveexec_b64 s[18:19], s[72:73]
	s_cbranch_execz .LBB2_497
; %bb.492:                              ;   in Loop: Header=BB2_299 Depth=3
	v_cmp_ne_u16_sdwa s[74:75], v19, s36 src0_sel:BYTE_0 src1_sel:DWORD
	v_bfrev_b32_e32 v27, 1
	s_and_saveexec_b64 s[72:73], s[74:75]
	s_cbranch_execz .LBB2_496
; %bb.493:                              ;   in Loop: Header=BB2_299 Depth=3
	v_and_b32_e32 v23, 0x7f, v19
	v_cmp_ne_u32_e32 vcc, s37, v23
	v_mov_b32_e32 v27, 0x7f800001
	s_and_saveexec_b64 s[74:75], vcc
	s_cbranch_execz .LBB2_495
; %bb.494:                              ;   in Loop: Header=BB2_299 Depth=3
	v_and_b32_e32 v24, 7, v19
	v_lshrrev_b32_e32 v27, 3, v23
	v_cmp_gt_u32_e32 vcc, 8, v23
	v_ffbh_u32_e32 v23, v24
	v_min_u32_e32 v23, 32, v23
	v_subrev_u32_e32 v24, 28, v23
	v_sub_u32_e32 v23, 29, v23
	v_cndmask_b32_e32 v27, v27, v23, vcc
	v_cndmask_b32_e32 v23, 0, v24, vcc
	v_lshlrev_b64 v[23:24], v23, v[19:20]
	v_lshl_add_u32 v24, v27, 23, v7
	v_lshlrev_b32_e32 v20, 20, v23
	v_lshlrev_b32_e32 v23, 24, v19
	v_and_b32_e32 v20, 0x700000, v20
	v_and_b32_e32 v23, 0x80000000, v23
	v_or3_b32 v27, v23, v24, v20
.LBB2_495:                              ;   in Loop: Header=BB2_299 Depth=3
	s_or_b64 exec, exec, s[74:75]
.LBB2_496:                              ;   in Loop: Header=BB2_299 Depth=3
	s_or_b64 exec, exec, s[72:73]
.LBB2_497:                              ;   in Loop: Header=BB2_299 Depth=3
	s_or_b64 exec, exec, s[18:19]
	v_lshl_or_b32 v20, v44, 8, v17
	v_lshlrev_b32_e32 v23, 16, v56
	v_lshlrev_b32_e32 v4, 24, v4
	v_or3_b32 v40, v23, v4, v20
	v_cmp_ne_u32_e32 vcc, 0, v17
	s_and_saveexec_b64 s[18:19], vcc
	s_cbranch_execz .LBB2_503
; %bb.498:                              ;   in Loop: Header=BB2_299 Depth=3
	v_cmp_ne_u32_e32 vcc, s36, v17
	v_bfrev_b32_e32 v0, 1
	s_and_saveexec_b64 s[72:73], vcc
	s_cbranch_execz .LBB2_502
; %bb.499:                              ;   in Loop: Header=BB2_299 Depth=3
	v_and_b32_e32 v4, 0x7f, v17
	v_cmp_ne_u32_e32 vcc, s37, v4
	v_mov_b32_e32 v0, 0x7f800001
	s_and_saveexec_b64 s[74:75], vcc
	s_cbranch_execz .LBB2_501
; %bb.500:                              ;   in Loop: Header=BB2_299 Depth=3
	v_and_b32_e32 v0, 7, v17
	v_ffbh_u32_e32 v0, v0
	v_min_u32_e32 v0, 32, v0
	v_lshrrev_b32_e32 v17, 3, v4
	v_cmp_gt_u32_e32 vcc, 8, v4
	v_subrev_u32_e32 v4, 28, v0
	v_cndmask_b32_e32 v4, 0, v4, vcc
	v_lshlrev_b64 v[23:24], v4, v[40:41]
	v_sub_u32_e32 v0, 29, v0
	v_cndmask_b32_e32 v0, v17, v0, vcc
	v_lshlrev_b32_e32 v4, 20, v23
	v_lshlrev_b32_e32 v17, 24, v40
	v_and_b32_e32 v4, 0x700000, v4
	v_and_b32_e32 v17, 0x80000000, v17
	v_lshl_add_u32 v0, v0, 23, v7
	v_or3_b32 v0, v17, v0, v4
.LBB2_501:                              ;   in Loop: Header=BB2_299 Depth=3
	s_or_b64 exec, exec, s[74:75]
.LBB2_502:                              ;   in Loop: Header=BB2_299 Depth=3
	s_or_b64 exec, exec, s[72:73]
.LBB2_503:                              ;   in Loop: Header=BB2_299 Depth=3
	s_or_b64 exec, exec, s[18:19]
	v_add_f32_e32 v4, v27, v0
	v_and_b32_e32 v23, 0x7f800000, v4
	v_mov_b32_e32 v24, v41
	v_cmp_ne_u64_e32 vcc, s[46:47], v[23:24]
                                        ; implicit-def: $vgpr17
	s_and_saveexec_b64 s[18:19], vcc
	s_xor_b64 s[72:73], exec, s[18:19]
	s_cbranch_execz .LBB2_517
; %bb.504:                              ;   in Loop: Header=BB2_299 Depth=3
	v_and_b32_e32 v23, 0x7fffffff, v4
	v_mov_b32_e32 v24, v41
	v_cmp_gt_u64_e32 vcc, s[56:57], v[23:24]
	v_and_b32_sdwa v0, v4, s36 dst_sel:DWORD dst_unused:UNUSED_PAD src0_sel:BYTE_3 src1_sel:DWORD
                                        ; implicit-def: $vgpr17
	s_and_saveexec_b64 s[18:19], vcc
	s_xor_b64 s[74:75], exec, s[18:19]
	s_cbranch_execz .LBB2_514
; %bb.505:                              ;   in Loop: Header=BB2_299 Depth=3
	v_mov_b32_e32 v17, 0
	v_cmp_ne_u32_e32 vcc, 0, v4
	s_and_saveexec_b64 s[76:77], vcc
	s_cbranch_execz .LBB2_513
; %bb.506:                              ;   in Loop: Header=BB2_299 Depth=3
	v_and_b32_e32 v23, 0x7fffff, v4
	v_bfe_u32 v4, v4, 23, 8
	v_cmp_gt_u32_e64 s[18:19], s38, v4
	v_sub_u32_e32 v17, 0x79, v4
	v_cmp_eq_u32_e32 vcc, 0, v4
	v_cndmask_b32_e64 v17, 0, v17, s[18:19]
	v_cndmask_b32_e32 v17, v17, v8, vcc
	v_add_u32_e32 v27, 20, v17
	v_or_b32_e32 v24, 0x800000, v23
	v_lshlrev_b64 v[27:28], v27, -1
	v_add_u32_e32 v42, 19, v17
	v_cndmask_b32_e32 v23, v24, v23, vcc
	v_lshlrev_b64 v[42:43], v42, 1
	v_mov_b32_e32 v24, v41
	v_bfi_b32 v28, v28, 0, 0
	v_bfi_b32 v27, v27, 0, v23
	v_cmp_eq_u64_e64 s[18:19], v[27:28], v[42:43]
	v_lshrrev_b64 v[27:28], v17, v[23:24]
	v_mov_b32_e32 v43, v28
	v_mov_b32_e32 v42, v27
	s_and_saveexec_b64 s[78:79], s[18:19]
; %bb.507:                              ;   in Loop: Header=BB2_299 Depth=3
	v_bfe_u32 v23, v27, 20, 1
	v_add_co_u32_e64 v23, s[18:19], v27, v23
	v_add_co_u32_e64 v42, s[18:19], -1, v23
; %bb.508:                              ;   in Loop: Header=BB2_299 Depth=3
	s_or_b64 exec, exec, s[78:79]
	v_add_u32_e32 v4, 0xffffff81, v4
	v_cndmask_b32_e32 v4, v4, v54, vcc
	v_lshrrev_b32_e32 v23, 23, v27
	v_add3_u32 v23, v17, v4, v23
	v_add_u32_e32 v17, 6, v23
	v_and_b32_e32 v4, 0xfffff, v42
	v_add_u32_e32 v27, v4, v27
	v_mov_b32_e32 v28, v41
	v_cmp_ne_u32_e32 vcc, 0, v17
                                        ; implicit-def: $vgpr4
	s_and_saveexec_b64 s[18:19], vcc
	s_xor_b64 s[18:19], exec, s[18:19]
; %bb.509:                              ;   in Loop: Header=BB2_299 Depth=3
	v_cmp_lt_u64_e32 vcc, s[58:59], v[27:28]
	v_add_u32_e32 v4, 7, v23
	v_cndmask_b32_e32 v4, v17, v4, vcc
	v_cndmask_b32_e64 v17, 0, 1, vcc
	v_lshrrev_b64 v[27:28], v17, v[27:28]
; %bb.510:                              ;   in Loop: Header=BB2_299 Depth=3
	s_andn2_saveexec_b64 s[18:19], s[18:19]
; %bb.511:                              ;   in Loop: Header=BB2_299 Depth=3
	v_bfe_u32 v4, v27, 23, 1
; %bb.512:                              ;   in Loop: Header=BB2_299 Depth=3
	s_or_b64 exec, exec, s[18:19]
	v_lshrrev_b64 v[23:24], 20, v[27:28]
	v_cmp_gt_i32_e32 vcc, 16, v4
	v_cndmask_b32_e32 v24, 0, v24, vcc
	v_cndmask_b32_e32 v23, 7, v23, vcc
	v_cmp_eq_u32_e32 vcc, 0, v4
	v_min_i32_e32 v4, 15, v4
	v_cmp_eq_u64_e64 s[18:19], 0, v[23:24]
	v_lshlrev_b32_e32 v4, 3, v4
	v_and_b32_e32 v4, 0xf8, v4
	v_and_or_b32 v4, v23, 7, v4
	s_and_b64 s[18:19], vcc, s[18:19]
	v_cndmask_b32_e64 v4, v4, 0, s[18:19]
	v_or_b32_e32 v17, v4, v0
.LBB2_513:                              ;   in Loop: Header=BB2_299 Depth=3
	s_or_b64 exec, exec, s[76:77]
                                        ; implicit-def: $vgpr0
.LBB2_514:                              ;   in Loop: Header=BB2_299 Depth=3
	s_andn2_saveexec_b64 s[18:19], s[74:75]
; %bb.515:                              ;   in Loop: Header=BB2_299 Depth=3
	v_or_b32_e32 v17, 0x7e, v0
; %bb.516:                              ;   in Loop: Header=BB2_299 Depth=3
	s_or_b64 exec, exec, s[18:19]
                                        ; implicit-def: $vgpr4
.LBB2_517:                              ;   in Loop: Header=BB2_299 Depth=3
	s_andn2_saveexec_b64 s[18:19], s[72:73]
; %bb.518:                              ;   in Loop: Header=BB2_299 Depth=3
	v_or_b32_sdwa v17, v4, s37 dst_sel:DWORD dst_unused:UNUSED_PAD src0_sel:BYTE_3 src1_sel:DWORD
; %bb.519:                              ;   in Loop: Header=BB2_299 Depth=3
	s_or_b64 exec, exec, s[18:19]
	v_lshrrev_b16_e32 v0, 8, v19
	v_cmp_ne_u16_e32 vcc, 0, v0
	v_mov_b32_e32 v4, 0
	v_mov_b32_e32 v27, 0
	s_and_saveexec_b64 s[18:19], vcc
	s_cbranch_execz .LBB2_525
; %bb.520:                              ;   in Loop: Header=BB2_299 Depth=3
	v_cmp_ne_u16_e32 vcc, s36, v0
	v_bfrev_b32_e32 v27, 1
	s_and_saveexec_b64 s[72:73], vcc
	s_cbranch_execz .LBB2_524
; %bb.521:                              ;   in Loop: Header=BB2_299 Depth=3
	v_and_b32_e32 v23, 0x7f, v0
	v_cmp_ne_u32_e32 vcc, s37, v23
	v_mov_b32_e32 v27, 0x7f800001
	s_and_saveexec_b64 s[74:75], vcc
	s_cbranch_execz .LBB2_523
; %bb.522:                              ;   in Loop: Header=BB2_299 Depth=3
	v_and_b32_e32 v27, 7, v0
	v_lshrrev_b32_e32 v28, 3, v23
	v_cmp_gt_u32_e32 vcc, 8, v23
	v_ffbh_u32_e32 v23, v27
	v_min_u32_e32 v42, 32, v23
	v_subrev_u32_e32 v23, 28, v42
	v_lshlrev_b64 v[23:24], v23, v[0:1]
	v_sub_u32_e32 v0, 29, v42
	v_and_b32_e32 v23, 7, v23
	v_cndmask_b32_e32 v0, v28, v0, vcc
	v_cndmask_b32_e32 v23, v27, v23, vcc
	v_lshlrev_b32_e32 v24, 16, v19
	v_lshlrev_b32_e32 v23, 20, v23
	v_and_b32_e32 v24, 0x80000000, v24
	v_lshl_add_u32 v0, v0, 23, v7
	v_or3_b32 v27, v24, v0, v23
.LBB2_523:                              ;   in Loop: Header=BB2_299 Depth=3
	s_or_b64 exec, exec, s[74:75]
.LBB2_524:                              ;   in Loop: Header=BB2_299 Depth=3
	s_or_b64 exec, exec, s[72:73]
.LBB2_525:                              ;   in Loop: Header=BB2_299 Depth=3
	s_or_b64 exec, exec, s[18:19]
	v_lshrrev_b16_e32 v0, 8, v20
	v_cmp_ne_u16_e32 vcc, 0, v0
	s_and_saveexec_b64 s[18:19], vcc
	s_cbranch_execz .LBB2_531
; %bb.526:                              ;   in Loop: Header=BB2_299 Depth=3
	v_cmp_ne_u16_e32 vcc, s36, v0
	v_bfrev_b32_e32 v4, 1
	s_and_saveexec_b64 s[72:73], vcc
	s_cbranch_execz .LBB2_530
; %bb.527:                              ;   in Loop: Header=BB2_299 Depth=3
	v_and_b32_e32 v23, 0x7f, v0
	v_cmp_ne_u32_e32 vcc, s37, v23
	v_mov_b32_e32 v4, 0x7f800001
	s_and_saveexec_b64 s[74:75], vcc
	s_cbranch_execz .LBB2_529
; %bb.528:                              ;   in Loop: Header=BB2_299 Depth=3
	v_and_b32_e32 v4, 7, v0
	v_lshrrev_b32_e32 v28, 3, v23
	v_cmp_gt_u32_e32 vcc, 8, v23
	v_ffbh_u32_e32 v23, v4
	v_min_u32_e32 v42, 32, v23
	v_subrev_u32_e32 v23, 28, v42
	v_lshlrev_b64 v[23:24], v23, v[0:1]
	v_sub_u32_e32 v0, 29, v42
	v_and_b32_e32 v23, 7, v23
	v_cndmask_b32_e32 v0, v28, v0, vcc
	v_cndmask_b32_e32 v4, v4, v23, vcc
	v_lshlrev_b32_e32 v20, 16, v20
	v_lshlrev_b32_e32 v4, 20, v4
	v_and_b32_e32 v20, 0x80000000, v20
	v_lshl_add_u32 v0, v0, 23, v7
	v_or3_b32 v4, v20, v0, v4
.LBB2_529:                              ;   in Loop: Header=BB2_299 Depth=3
	s_or_b64 exec, exec, s[74:75]
.LBB2_530:                              ;   in Loop: Header=BB2_299 Depth=3
	s_or_b64 exec, exec, s[72:73]
.LBB2_531:                              ;   in Loop: Header=BB2_299 Depth=3
	s_or_b64 exec, exec, s[18:19]
	v_add_f32_e32 v4, v27, v4
	v_and_b32_e32 v23, 0x7f800000, v4
	v_mov_b32_e32 v24, v41
	v_cmp_ne_u64_e32 vcc, s[46:47], v[23:24]
                                        ; implicit-def: $vgpr44
	s_and_saveexec_b64 s[18:19], vcc
	s_xor_b64 s[72:73], exec, s[18:19]
	s_cbranch_execz .LBB2_545
; %bb.532:                              ;   in Loop: Header=BB2_299 Depth=3
	v_and_b32_e32 v23, 0x7fffffff, v4
	v_mov_b32_e32 v24, v41
	v_cmp_gt_u64_e32 vcc, s[56:57], v[23:24]
	v_and_b32_sdwa v0, v4, s36 dst_sel:DWORD dst_unused:UNUSED_PAD src0_sel:BYTE_3 src1_sel:DWORD
                                        ; implicit-def: $vgpr44
	s_and_saveexec_b64 s[18:19], vcc
	s_xor_b64 s[74:75], exec, s[18:19]
	s_cbranch_execz .LBB2_542
; %bb.533:                              ;   in Loop: Header=BB2_299 Depth=3
	v_mov_b32_e32 v44, 0
	v_cmp_ne_u32_e32 vcc, 0, v4
	s_and_saveexec_b64 s[76:77], vcc
	s_cbranch_execz .LBB2_541
; %bb.534:                              ;   in Loop: Header=BB2_299 Depth=3
	v_and_b32_e32 v23, 0x7fffff, v4
	v_bfe_u32 v4, v4, 23, 8
	v_cmp_gt_u32_e64 s[18:19], s38, v4
	v_sub_u32_e32 v20, 0x79, v4
	v_cmp_eq_u32_e32 vcc, 0, v4
	v_cndmask_b32_e64 v20, 0, v20, s[18:19]
	v_cndmask_b32_e32 v20, v20, v8, vcc
	v_add_u32_e32 v27, 20, v20
	v_or_b32_e32 v24, 0x800000, v23
	v_lshlrev_b64 v[27:28], v27, -1
	v_add_u32_e32 v42, 19, v20
	v_cndmask_b32_e32 v23, v24, v23, vcc
	v_lshlrev_b64 v[42:43], v42, 1
	v_mov_b32_e32 v24, v41
	v_bfi_b32 v28, v28, 0, 0
	v_bfi_b32 v27, v27, 0, v23
	v_cmp_eq_u64_e64 s[18:19], v[27:28], v[42:43]
	v_lshrrev_b64 v[27:28], v20, v[23:24]
	v_mov_b32_e32 v43, v28
	v_mov_b32_e32 v42, v27
	s_and_saveexec_b64 s[78:79], s[18:19]
; %bb.535:                              ;   in Loop: Header=BB2_299 Depth=3
	v_bfe_u32 v23, v27, 20, 1
	v_add_co_u32_e64 v23, s[18:19], v27, v23
	v_add_co_u32_e64 v42, s[18:19], -1, v23
; %bb.536:                              ;   in Loop: Header=BB2_299 Depth=3
	s_or_b64 exec, exec, s[78:79]
	v_add_u32_e32 v4, 0xffffff81, v4
	v_cndmask_b32_e32 v4, v4, v54, vcc
	v_lshrrev_b32_e32 v23, 23, v27
	v_add3_u32 v23, v20, v4, v23
	v_add_u32_e32 v20, 6, v23
	v_and_b32_e32 v4, 0xfffff, v42
	v_add_u32_e32 v27, v4, v27
	v_mov_b32_e32 v28, v41
	v_cmp_ne_u32_e32 vcc, 0, v20
                                        ; implicit-def: $vgpr4
	s_and_saveexec_b64 s[18:19], vcc
	s_xor_b64 s[18:19], exec, s[18:19]
; %bb.537:                              ;   in Loop: Header=BB2_299 Depth=3
	v_cmp_lt_u64_e32 vcc, s[58:59], v[27:28]
	v_add_u32_e32 v4, 7, v23
	v_cndmask_b32_e32 v4, v20, v4, vcc
	v_cndmask_b32_e64 v20, 0, 1, vcc
	v_lshrrev_b64 v[27:28], v20, v[27:28]
; %bb.538:                              ;   in Loop: Header=BB2_299 Depth=3
	s_andn2_saveexec_b64 s[18:19], s[18:19]
; %bb.539:                              ;   in Loop: Header=BB2_299 Depth=3
	v_bfe_u32 v4, v27, 23, 1
; %bb.540:                              ;   in Loop: Header=BB2_299 Depth=3
	s_or_b64 exec, exec, s[18:19]
	v_lshrrev_b64 v[23:24], 20, v[27:28]
	v_cmp_gt_i32_e32 vcc, 16, v4
	v_cndmask_b32_e32 v24, 0, v24, vcc
	v_cndmask_b32_e32 v23, 7, v23, vcc
	v_cmp_eq_u32_e32 vcc, 0, v4
	v_min_i32_e32 v4, 15, v4
	v_cmp_eq_u64_e64 s[18:19], 0, v[23:24]
	v_lshlrev_b32_e32 v4, 3, v4
	v_and_b32_e32 v4, 0xf8, v4
	v_and_or_b32 v4, v23, 7, v4
	s_and_b64 s[18:19], vcc, s[18:19]
	v_cndmask_b32_e64 v4, v4, 0, s[18:19]
	v_or_b32_e32 v44, v4, v0
.LBB2_541:                              ;   in Loop: Header=BB2_299 Depth=3
	s_or_b64 exec, exec, s[76:77]
                                        ; implicit-def: $vgpr0
.LBB2_542:                              ;   in Loop: Header=BB2_299 Depth=3
	s_andn2_saveexec_b64 s[18:19], s[74:75]
; %bb.543:                              ;   in Loop: Header=BB2_299 Depth=3
	v_or_b32_e32 v44, 0x7e, v0
; %bb.544:                              ;   in Loop: Header=BB2_299 Depth=3
	s_or_b64 exec, exec, s[18:19]
                                        ; implicit-def: $vgpr4
.LBB2_545:                              ;   in Loop: Header=BB2_299 Depth=3
	s_andn2_saveexec_b64 s[18:19], s[72:73]
; %bb.546:                              ;   in Loop: Header=BB2_299 Depth=3
	v_or_b32_sdwa v44, v4, s37 dst_sel:DWORD dst_unused:UNUSED_PAD src0_sel:BYTE_3 src1_sel:DWORD
; %bb.547:                              ;   in Loop: Header=BB2_299 Depth=3
	s_or_b64 exec, exec, s[18:19]
	v_lshrrev_b32_e32 v0, 16, v19
	v_cmp_ne_u16_sdwa s[72:73], v0, v41 src0_sel:BYTE_0 src1_sel:DWORD
	v_mov_b32_e32 v4, 0
	v_mov_b32_e32 v20, 0
	s_and_saveexec_b64 s[18:19], s[72:73]
	s_cbranch_execz .LBB2_553
; %bb.548:                              ;   in Loop: Header=BB2_299 Depth=3
	v_cmp_ne_u16_sdwa s[74:75], v0, s36 src0_sel:BYTE_0 src1_sel:DWORD
	v_bfrev_b32_e32 v20, 1
	s_and_saveexec_b64 s[72:73], s[74:75]
	s_cbranch_execz .LBB2_552
; %bb.549:                              ;   in Loop: Header=BB2_299 Depth=3
	v_bfe_u32 v23, v19, 16, 7
	v_cmp_ne_u32_e32 vcc, s37, v23
	v_mov_b32_e32 v20, 0x7f800001
	s_and_saveexec_b64 s[74:75], vcc
	s_cbranch_execz .LBB2_551
; %bb.550:                              ;   in Loop: Header=BB2_299 Depth=3
	v_and_b32_e32 v20, 7, v0
	v_lshrrev_b32_e32 v27, 3, v23
	v_cmp_gt_u32_e32 vcc, 8, v23
	v_ffbh_u32_e32 v23, v20
	v_min_u32_e32 v28, 32, v23
	v_subrev_u32_e32 v23, 28, v28
	v_lshlrev_b64 v[23:24], v23, v[0:1]
	v_sub_u32_e32 v24, 29, v28
	v_and_b32_e32 v23, 7, v23
	v_cndmask_b32_e32 v24, v27, v24, vcc
	v_cndmask_b32_e32 v20, v20, v23, vcc
	v_lshlrev_b32_e32 v0, 24, v0
	v_lshlrev_b32_e32 v20, 20, v20
	v_and_b32_e32 v0, 0x80000000, v0
	v_lshl_add_u32 v23, v24, 23, v7
	v_or3_b32 v20, v0, v23, v20
.LBB2_551:                              ;   in Loop: Header=BB2_299 Depth=3
	s_or_b64 exec, exec, s[74:75]
.LBB2_552:                              ;   in Loop: Header=BB2_299 Depth=3
	s_or_b64 exec, exec, s[72:73]
.LBB2_553:                              ;   in Loop: Header=BB2_299 Depth=3
	s_or_b64 exec, exec, s[18:19]
	v_and_b32_sdwa v23, v40, s35 dst_sel:DWORD dst_unused:UNUSED_PAD src0_sel:WORD_1 src1_sel:DWORD
	v_lshrrev_b32_e32 v0, 16, v40
	v_cmp_ne_u16_e32 vcc, 0, v23
	s_and_saveexec_b64 s[18:19], vcc
	s_cbranch_execz .LBB2_559
; %bb.554:                              ;   in Loop: Header=BB2_299 Depth=3
	v_cmp_ne_u16_e32 vcc, s36, v23
	v_bfrev_b32_e32 v4, 1
	s_and_saveexec_b64 s[72:73], vcc
	s_cbranch_execz .LBB2_558
; %bb.555:                              ;   in Loop: Header=BB2_299 Depth=3
	v_bfe_u32 v23, v40, 16, 7
	v_cmp_ne_u32_e32 vcc, s37, v23
	v_mov_b32_e32 v4, 0x7f800001
	s_and_saveexec_b64 s[74:75], vcc
	s_cbranch_execz .LBB2_557
; %bb.556:                              ;   in Loop: Header=BB2_299 Depth=3
	v_and_b32_e32 v4, 7, v0
	v_lshrrev_b32_e32 v27, 3, v23
	v_cmp_gt_u32_e32 vcc, 8, v23
	v_ffbh_u32_e32 v23, v4
	v_min_u32_e32 v28, 32, v23
	v_subrev_u32_e32 v23, 28, v28
	v_lshlrev_b64 v[23:24], v23, v[0:1]
	v_sub_u32_e32 v0, 29, v28
	v_and_b32_e32 v23, 7, v23
	v_cndmask_b32_e32 v0, v27, v0, vcc
	v_cndmask_b32_e32 v4, v4, v23, vcc
	v_lshlrev_b32_e32 v23, 8, v40
	v_lshlrev_b32_e32 v4, 20, v4
	v_and_b32_e32 v23, 0x80000000, v23
	v_lshl_add_u32 v0, v0, 23, v7
	v_or3_b32 v4, v23, v0, v4
.LBB2_557:                              ;   in Loop: Header=BB2_299 Depth=3
	s_or_b64 exec, exec, s[74:75]
.LBB2_558:                              ;   in Loop: Header=BB2_299 Depth=3
	s_or_b64 exec, exec, s[72:73]
.LBB2_559:                              ;   in Loop: Header=BB2_299 Depth=3
	s_or_b64 exec, exec, s[18:19]
	v_add_f32_e32 v4, v20, v4
	v_and_b32_e32 v23, 0x7f800000, v4
	v_mov_b32_e32 v24, v41
	v_cmp_ne_u64_e32 vcc, s[46:47], v[23:24]
                                        ; implicit-def: $vgpr42
	s_and_saveexec_b64 s[18:19], vcc
	s_xor_b64 s[72:73], exec, s[18:19]
	s_cbranch_execz .LBB2_573
; %bb.560:                              ;   in Loop: Header=BB2_299 Depth=3
	v_and_b32_e32 v23, 0x7fffffff, v4
	v_mov_b32_e32 v24, v41
	v_cmp_gt_u64_e32 vcc, s[56:57], v[23:24]
	v_and_b32_sdwa v0, v4, s36 dst_sel:DWORD dst_unused:UNUSED_PAD src0_sel:BYTE_3 src1_sel:DWORD
                                        ; implicit-def: $vgpr42
	s_and_saveexec_b64 s[18:19], vcc
	s_xor_b64 s[74:75], exec, s[18:19]
	s_cbranch_execz .LBB2_570
; %bb.561:                              ;   in Loop: Header=BB2_299 Depth=3
	v_mov_b32_e32 v42, 0
	v_cmp_ne_u32_e32 vcc, 0, v4
	s_and_saveexec_b64 s[76:77], vcc
	s_cbranch_execz .LBB2_569
; %bb.562:                              ;   in Loop: Header=BB2_299 Depth=3
	v_and_b32_e32 v23, 0x7fffff, v4
	v_bfe_u32 v4, v4, 23, 8
	v_cmp_gt_u32_e64 s[18:19], s38, v4
	v_sub_u32_e32 v20, 0x79, v4
	v_cmp_eq_u32_e32 vcc, 0, v4
	v_cndmask_b32_e64 v20, 0, v20, s[18:19]
	v_cndmask_b32_e32 v20, v20, v8, vcc
	v_add_u32_e32 v27, 20, v20
	v_or_b32_e32 v24, 0x800000, v23
	v_lshlrev_b64 v[27:28], v27, -1
	v_add_u32_e32 v42, 19, v20
	v_cndmask_b32_e32 v23, v24, v23, vcc
	v_lshlrev_b64 v[42:43], v42, 1
	v_mov_b32_e32 v24, v41
	v_bfi_b32 v28, v28, 0, 0
	v_bfi_b32 v27, v27, 0, v23
	v_cmp_eq_u64_e64 s[18:19], v[27:28], v[42:43]
	v_lshrrev_b64 v[27:28], v20, v[23:24]
	v_mov_b32_e32 v43, v28
	v_mov_b32_e32 v42, v27
	s_and_saveexec_b64 s[78:79], s[18:19]
; %bb.563:                              ;   in Loop: Header=BB2_299 Depth=3
	v_bfe_u32 v23, v27, 20, 1
	v_add_co_u32_e64 v23, s[18:19], v27, v23
	v_add_co_u32_e64 v42, s[18:19], -1, v23
; %bb.564:                              ;   in Loop: Header=BB2_299 Depth=3
	s_or_b64 exec, exec, s[78:79]
	v_add_u32_e32 v4, 0xffffff81, v4
	v_cndmask_b32_e32 v4, v4, v54, vcc
	v_lshrrev_b32_e32 v23, 23, v27
	v_add3_u32 v23, v20, v4, v23
	v_add_u32_e32 v20, 6, v23
	v_and_b32_e32 v4, 0xfffff, v42
	v_add_u32_e32 v27, v4, v27
	v_mov_b32_e32 v28, v41
	v_cmp_ne_u32_e32 vcc, 0, v20
                                        ; implicit-def: $vgpr4
	s_and_saveexec_b64 s[18:19], vcc
	s_xor_b64 s[18:19], exec, s[18:19]
; %bb.565:                              ;   in Loop: Header=BB2_299 Depth=3
	v_cmp_lt_u64_e32 vcc, s[58:59], v[27:28]
	v_add_u32_e32 v4, 7, v23
	v_cndmask_b32_e32 v4, v20, v4, vcc
	v_cndmask_b32_e64 v20, 0, 1, vcc
	v_lshrrev_b64 v[27:28], v20, v[27:28]
; %bb.566:                              ;   in Loop: Header=BB2_299 Depth=3
	s_andn2_saveexec_b64 s[18:19], s[18:19]
; %bb.567:                              ;   in Loop: Header=BB2_299 Depth=3
	v_bfe_u32 v4, v27, 23, 1
; %bb.568:                              ;   in Loop: Header=BB2_299 Depth=3
	s_or_b64 exec, exec, s[18:19]
	v_lshrrev_b64 v[23:24], 20, v[27:28]
	v_cmp_gt_i32_e32 vcc, 16, v4
	v_cndmask_b32_e32 v24, 0, v24, vcc
	v_cndmask_b32_e32 v23, 7, v23, vcc
	v_cmp_eq_u32_e32 vcc, 0, v4
	v_min_i32_e32 v4, 15, v4
	v_cmp_eq_u64_e64 s[18:19], 0, v[23:24]
	v_lshlrev_b32_e32 v4, 3, v4
	v_and_b32_e32 v4, 0xf8, v4
	v_and_or_b32 v4, v23, 7, v4
	s_and_b64 s[18:19], vcc, s[18:19]
	v_cndmask_b32_e64 v4, v4, 0, s[18:19]
	v_or_b32_e32 v42, v4, v0
.LBB2_569:                              ;   in Loop: Header=BB2_299 Depth=3
	s_or_b64 exec, exec, s[76:77]
                                        ; implicit-def: $vgpr0
.LBB2_570:                              ;   in Loop: Header=BB2_299 Depth=3
	s_andn2_saveexec_b64 s[18:19], s[74:75]
; %bb.571:                              ;   in Loop: Header=BB2_299 Depth=3
	v_or_b32_e32 v42, 0x7e, v0
; %bb.572:                              ;   in Loop: Header=BB2_299 Depth=3
	s_or_b64 exec, exec, s[18:19]
                                        ; implicit-def: $vgpr4
.LBB2_573:                              ;   in Loop: Header=BB2_299 Depth=3
	s_andn2_saveexec_b64 s[18:19], s[72:73]
; %bb.574:                              ;   in Loop: Header=BB2_299 Depth=3
	v_or_b32_sdwa v42, v4, s37 dst_sel:DWORD dst_unused:UNUSED_PAD src0_sel:BYTE_3 src1_sel:DWORD
; %bb.575:                              ;   in Loop: Header=BB2_299 Depth=3
	s_or_b64 exec, exec, s[18:19]
	v_cmp_lt_u32_e32 vcc, s39, v19
	v_mov_b32_e32 v4, 0
	v_mov_b32_e32 v20, 0
	s_and_saveexec_b64 s[18:19], vcc
	s_cbranch_execz .LBB2_581
; %bb.576:                              ;   in Loop: Header=BB2_299 Depth=3
	v_lshrrev_b32_e32 v0, 24, v19
	v_cmp_ne_u32_e32 vcc, s36, v0
	v_bfrev_b32_e32 v20, 1
	s_and_saveexec_b64 s[72:73], vcc
	s_cbranch_execz .LBB2_580
; %bb.577:                              ;   in Loop: Header=BB2_299 Depth=3
	v_bfe_u32 v19, v19, 24, 7
	v_cmp_ne_u32_e32 vcc, s37, v19
	v_mov_b32_e32 v20, 0x7f800001
	s_and_saveexec_b64 s[74:75], vcc
	s_cbranch_execz .LBB2_579
; %bb.578:                              ;   in Loop: Header=BB2_299 Depth=3
	v_and_b32_e32 v23, 7, v0
	v_lshrrev_b32_e32 v24, 3, v19
	v_cmp_gt_u32_e32 vcc, 8, v19
	v_ffbh_u32_e32 v19, v23
	v_min_u32_e32 v27, 32, v19
	v_subrev_u32_e32 v19, 28, v27
	v_lshlrev_b64 v[19:20], v19, v[0:1]
	v_sub_u32_e32 v20, 29, v27
	v_and_b32_e32 v19, 7, v19
	v_cndmask_b32_e32 v20, v24, v20, vcc
	v_cndmask_b32_e32 v19, v23, v19, vcc
	v_lshlrev_b32_e32 v0, 24, v0
	v_lshlrev_b32_e32 v19, 20, v19
	v_and_b32_e32 v0, 0x80000000, v0
	v_lshl_add_u32 v20, v20, 23, v7
	v_or3_b32 v20, v0, v20, v19
.LBB2_579:                              ;   in Loop: Header=BB2_299 Depth=3
	s_or_b64 exec, exec, s[74:75]
.LBB2_580:                              ;   in Loop: Header=BB2_299 Depth=3
	s_or_b64 exec, exec, s[72:73]
.LBB2_581:                              ;   in Loop: Header=BB2_299 Depth=3
	s_or_b64 exec, exec, s[18:19]
	v_cmp_lt_u32_e32 vcc, s39, v40
	s_and_saveexec_b64 s[18:19], vcc
	s_cbranch_execz .LBB2_587
; %bb.582:                              ;   in Loop: Header=BB2_299 Depth=3
	v_lshrrev_b32_e32 v0, 24, v40
	v_cmp_ne_u32_e32 vcc, s36, v0
	v_bfrev_b32_e32 v4, 1
	s_and_saveexec_b64 s[72:73], vcc
	s_cbranch_execz .LBB2_586
; %bb.583:                              ;   in Loop: Header=BB2_299 Depth=3
	v_bfe_u32 v19, v40, 24, 7
	v_cmp_ne_u32_e32 vcc, s37, v19
	v_mov_b32_e32 v4, 0x7f800001
	s_and_saveexec_b64 s[74:75], vcc
	s_cbranch_execz .LBB2_585
; %bb.584:                              ;   in Loop: Header=BB2_299 Depth=3
	v_and_b32_e32 v4, 7, v0
	v_lshrrev_b32_e32 v27, 3, v19
	v_cmp_gt_u32_e32 vcc, 8, v19
	v_ffbh_u32_e32 v19, v4
	v_min_u32_e32 v19, 32, v19
	v_subrev_u32_e32 v23, 28, v19
	v_lshlrev_b64 v[23:24], v23, v[0:1]
	v_sub_u32_e32 v19, 29, v19
	v_and_b32_e32 v23, 7, v23
	v_cndmask_b32_e32 v19, v27, v19, vcc
	v_cndmask_b32_e32 v4, v4, v23, vcc
	v_lshlrev_b32_e32 v0, 24, v0
	v_lshlrev_b32_e32 v4, 20, v4
	v_and_b32_e32 v0, 0x80000000, v0
	v_lshl_add_u32 v19, v19, 23, v7
	v_or3_b32 v4, v0, v19, v4
.LBB2_585:                              ;   in Loop: Header=BB2_299 Depth=3
	s_or_b64 exec, exec, s[74:75]
.LBB2_586:                              ;   in Loop: Header=BB2_299 Depth=3
	s_or_b64 exec, exec, s[72:73]
.LBB2_587:                              ;   in Loop: Header=BB2_299 Depth=3
	s_or_b64 exec, exec, s[18:19]
	v_add_f32_e32 v4, v20, v4
	v_and_b32_e32 v40, 0x7f800000, v4
	v_cmp_ne_u64_e32 vcc, s[46:47], v[40:41]
                                        ; implicit-def: $vgpr43
	s_and_saveexec_b64 s[18:19], vcc
	s_xor_b64 s[72:73], exec, s[18:19]
	s_cbranch_execz .LBB2_601
; %bb.588:                              ;   in Loop: Header=BB2_299 Depth=3
	v_and_b32_e32 v40, 0x7fffffff, v4
	v_cmp_gt_u64_e32 vcc, s[56:57], v[40:41]
	v_and_b32_sdwa v0, v4, s36 dst_sel:DWORD dst_unused:UNUSED_PAD src0_sel:BYTE_3 src1_sel:DWORD
                                        ; implicit-def: $vgpr43
	s_and_saveexec_b64 s[18:19], vcc
	s_xor_b64 s[74:75], exec, s[18:19]
	s_cbranch_execz .LBB2_598
; %bb.589:                              ;   in Loop: Header=BB2_299 Depth=3
	v_mov_b32_e32 v43, 0
	v_cmp_ne_u32_e32 vcc, 0, v4
	s_and_saveexec_b64 s[76:77], vcc
	s_cbranch_execz .LBB2_597
; %bb.590:                              ;   in Loop: Header=BB2_299 Depth=3
	v_and_b32_e32 v19, 0x7fffff, v4
	v_bfe_u32 v4, v4, 23, 8
	v_cmp_gt_u32_e64 s[18:19], s38, v4
	v_sub_u32_e32 v20, 0x79, v4
	v_cmp_eq_u32_e32 vcc, 0, v4
	v_cndmask_b32_e64 v20, 0, v20, s[18:19]
	v_or_b32_e32 v24, 0x800000, v19
	v_cndmask_b32_e32 v23, v20, v8, vcc
	v_cndmask_b32_e32 v40, v24, v19, vcc
	v_add_u32_e32 v19, 20, v23
	v_lshlrev_b64 v[19:20], v19, -1
	v_add_u32_e32 v24, 19, v23
	v_lshlrev_b64 v[27:28], v24, 1
	v_bfi_b32 v20, v20, 0, 0
	v_bfi_b32 v19, v19, 0, v40
	v_cmp_eq_u64_e64 s[18:19], v[19:20], v[27:28]
	v_lshrrev_b64 v[19:20], v23, v[40:41]
	v_mov_b32_e32 v28, v20
	v_mov_b32_e32 v27, v19
	s_and_saveexec_b64 s[78:79], s[18:19]
; %bb.591:                              ;   in Loop: Header=BB2_299 Depth=3
	v_bfe_u32 v20, v19, 20, 1
	v_add_co_u32_e64 v20, s[18:19], v19, v20
	v_add_co_u32_e64 v27, s[18:19], -1, v20
; %bb.592:                              ;   in Loop: Header=BB2_299 Depth=3
	s_or_b64 exec, exec, s[78:79]
	v_add_u32_e32 v4, 0xffffff81, v4
	v_cndmask_b32_e32 v4, v4, v54, vcc
	v_lshrrev_b32_e32 v20, 23, v19
	v_add3_u32 v24, v23, v4, v20
	v_add_u32_e32 v23, 6, v24
	v_and_b32_e32 v4, 0xfffff, v27
	v_add_u32_e32 v40, v4, v19
	v_cmp_ne_u32_e32 vcc, 0, v23
                                        ; implicit-def: $vgpr19_vgpr20
                                        ; implicit-def: $vgpr4
	s_and_saveexec_b64 s[18:19], vcc
	s_xor_b64 s[18:19], exec, s[18:19]
; %bb.593:                              ;   in Loop: Header=BB2_299 Depth=3
	v_cmp_lt_u64_e32 vcc, s[58:59], v[40:41]
	v_add_u32_e32 v4, 7, v24
	v_cndmask_b32_e64 v19, 0, 1, vcc
	v_cndmask_b32_e32 v4, v23, v4, vcc
	v_lshrrev_b64 v[19:20], v19, v[40:41]
; %bb.594:                              ;   in Loop: Header=BB2_299 Depth=3
	s_andn2_saveexec_b64 s[18:19], s[18:19]
; %bb.595:                              ;   in Loop: Header=BB2_299 Depth=3
	v_mov_b32_e32 v19, v40
	v_bfe_u32 v4, v40, 23, 1
	v_mov_b32_e32 v20, v41
; %bb.596:                              ;   in Loop: Header=BB2_299 Depth=3
	s_or_b64 exec, exec, s[18:19]
	v_lshrrev_b64 v[19:20], 20, v[19:20]
	v_cmp_gt_i32_e32 vcc, 16, v4
	v_cndmask_b32_e32 v20, 0, v20, vcc
	v_cndmask_b32_e32 v19, 7, v19, vcc
	v_cmp_eq_u32_e32 vcc, 0, v4
	v_min_i32_e32 v4, 15, v4
	v_cmp_eq_u64_e64 s[18:19], 0, v[19:20]
	v_lshlrev_b32_e32 v4, 3, v4
	v_and_b32_e32 v4, 0xf8, v4
	v_and_or_b32 v4, v19, 7, v4
	s_and_b64 s[18:19], vcc, s[18:19]
	v_cndmask_b32_e64 v4, v4, 0, s[18:19]
	v_or_b32_e32 v43, v4, v0
.LBB2_597:                              ;   in Loop: Header=BB2_299 Depth=3
	s_or_b64 exec, exec, s[76:77]
                                        ; implicit-def: $vgpr0
.LBB2_598:                              ;   in Loop: Header=BB2_299 Depth=3
	s_andn2_saveexec_b64 s[18:19], s[74:75]
; %bb.599:                              ;   in Loop: Header=BB2_299 Depth=3
	v_or_b32_e32 v43, 0x7e, v0
; %bb.600:                              ;   in Loop: Header=BB2_299 Depth=3
	s_or_b64 exec, exec, s[18:19]
                                        ; implicit-def: $vgpr4
.LBB2_601:                              ;   in Loop: Header=BB2_299 Depth=3
	s_andn2_saveexec_b64 s[18:19], s[72:73]
; %bb.602:                              ;   in Loop: Header=BB2_299 Depth=3
	v_or_b32_sdwa v43, v4, s37 dst_sel:DWORD dst_unused:UNUSED_PAD src0_sel:BYTE_3 src1_sel:DWORD
; %bb.603:                              ;   in Loop: Header=BB2_299 Depth=3
	s_or_b64 exec, exec, s[18:19]
	v_cmp_ne_u16_sdwa s[72:73], v21, v41 src0_sel:BYTE_0 src1_sel:DWORD
	v_mov_b32_e32 v0, 0
	v_mov_b32_e32 v4, 0
	s_and_saveexec_b64 s[18:19], s[72:73]
	s_cbranch_execz .LBB2_609
; %bb.604:                              ;   in Loop: Header=BB2_299 Depth=3
	v_cmp_ne_u16_sdwa s[74:75], v21, s36 src0_sel:BYTE_0 src1_sel:DWORD
	v_bfrev_b32_e32 v4, 1
	s_and_saveexec_b64 s[72:73], s[74:75]
	s_cbranch_execz .LBB2_608
; %bb.605:                              ;   in Loop: Header=BB2_299 Depth=3
	v_and_b32_e32 v19, 0x7f, v21
	v_cmp_ne_u32_e32 vcc, s37, v19
	v_mov_b32_e32 v4, 0x7f800001
	s_and_saveexec_b64 s[74:75], vcc
	s_cbranch_execz .LBB2_607
; %bb.606:                              ;   in Loop: Header=BB2_299 Depth=3
	v_and_b32_e32 v4, 7, v21
	v_ffbh_u32_e32 v4, v4
	v_min_u32_e32 v4, 32, v4
	v_lshrrev_b32_e32 v20, 3, v19
	v_cmp_gt_u32_e32 vcc, 8, v19
	v_subrev_u32_e32 v19, 28, v4
	v_sub_u32_e32 v4, 29, v4
	v_cndmask_b32_e32 v19, 0, v19, vcc
	v_cndmask_b32_e32 v4, v20, v4, vcc
	v_lshlrev_b64 v[19:20], v19, v[21:22]
	v_lshlrev_b32_e32 v20, 24, v21
	v_lshlrev_b32_e32 v19, 20, v19
	v_and_b32_e32 v19, 0x700000, v19
	v_and_b32_e32 v20, 0x80000000, v20
	v_lshl_add_u32 v4, v4, 23, v7
	v_or3_b32 v4, v20, v4, v19
.LBB2_607:                              ;   in Loop: Header=BB2_299 Depth=3
	s_or_b64 exec, exec, s[74:75]
.LBB2_608:                              ;   in Loop: Header=BB2_299 Depth=3
	s_or_b64 exec, exec, s[72:73]
.LBB2_609:                              ;   in Loop: Header=BB2_299 Depth=3
	s_or_b64 exec, exec, s[18:19]
	v_lshlrev_b32_e32 v19, 24, v57
	v_lshlrev_b32_e32 v20, 16, v31
	v_lshl_or_b32 v22, v45, 8, v59
	v_or3_b32 v40, v20, v19, v22
	v_cmp_ne_u32_e32 vcc, 0, v59
	s_and_saveexec_b64 s[18:19], vcc
	s_cbranch_execz .LBB2_615
; %bb.610:                              ;   in Loop: Header=BB2_299 Depth=3
	v_cmp_ne_u32_e32 vcc, s36, v59
	v_bfrev_b32_e32 v0, 1
	s_and_saveexec_b64 s[72:73], vcc
	s_cbranch_execz .LBB2_614
; %bb.611:                              ;   in Loop: Header=BB2_299 Depth=3
	v_and_b32_e32 v19, 0x7f, v59
	v_cmp_ne_u32_e32 vcc, s37, v19
	v_mov_b32_e32 v0, 0x7f800001
	s_and_saveexec_b64 s[74:75], vcc
	s_cbranch_execz .LBB2_613
; %bb.612:                              ;   in Loop: Header=BB2_299 Depth=3
	v_and_b32_e32 v0, 7, v59
	v_ffbh_u32_e32 v0, v0
	v_min_u32_e32 v0, 32, v0
	v_lshrrev_b32_e32 v20, 3, v19
	v_cmp_gt_u32_e32 vcc, 8, v19
	v_subrev_u32_e32 v19, 28, v0
	v_sub_u32_e32 v0, 29, v0
	v_cndmask_b32_e32 v19, 0, v19, vcc
	v_cndmask_b32_e32 v0, v20, v0, vcc
	v_lshlrev_b64 v[19:20], v19, v[40:41]
	v_lshlrev_b32_e32 v20, 24, v40
	v_lshlrev_b32_e32 v19, 20, v19
	v_and_b32_e32 v19, 0x700000, v19
	v_and_b32_e32 v20, 0x80000000, v20
	v_lshl_add_u32 v0, v0, 23, v7
	v_or3_b32 v0, v20, v0, v19
.LBB2_613:                              ;   in Loop: Header=BB2_299 Depth=3
	s_or_b64 exec, exec, s[74:75]
.LBB2_614:                              ;   in Loop: Header=BB2_299 Depth=3
	s_or_b64 exec, exec, s[72:73]
.LBB2_615:                              ;   in Loop: Header=BB2_299 Depth=3
	s_or_b64 exec, exec, s[18:19]
	v_add_f32_e32 v19, v4, v0
	v_and_b32_e32 v23, 0x7f800000, v19
	v_mov_b32_e32 v24, v41
	v_cmp_ne_u64_e32 vcc, s[46:47], v[23:24]
                                        ; implicit-def: $vgpr4
	s_and_saveexec_b64 s[18:19], vcc
	s_xor_b64 s[72:73], exec, s[18:19]
	s_cbranch_execz .LBB2_629
; %bb.616:                              ;   in Loop: Header=BB2_299 Depth=3
	v_and_b32_e32 v23, 0x7fffffff, v19
	v_mov_b32_e32 v24, v41
	v_cmp_gt_u64_e32 vcc, s[56:57], v[23:24]
	v_and_b32_sdwa v0, v19, s36 dst_sel:DWORD dst_unused:UNUSED_PAD src0_sel:BYTE_3 src1_sel:DWORD
                                        ; implicit-def: $vgpr4
	s_and_saveexec_b64 s[18:19], vcc
	s_xor_b64 s[74:75], exec, s[18:19]
	s_cbranch_execz .LBB2_626
; %bb.617:                              ;   in Loop: Header=BB2_299 Depth=3
	v_mov_b32_e32 v4, 0
	v_cmp_ne_u32_e32 vcc, 0, v19
	s_and_saveexec_b64 s[76:77], vcc
	s_cbranch_execz .LBB2_625
; %bb.618:                              ;   in Loop: Header=BB2_299 Depth=3
	v_bfe_u32 v4, v19, 23, 8
	v_and_b32_e32 v20, 0x7fffff, v19
	v_cmp_gt_u32_e64 s[18:19], s38, v4
	v_sub_u32_e32 v19, 0x79, v4
	v_cmp_eq_u32_e32 vcc, 0, v4
	v_cndmask_b32_e64 v19, 0, v19, s[18:19]
	v_or_b32_e32 v24, 0x800000, v20
	v_cndmask_b32_e32 v23, v19, v8, vcc
	v_cndmask_b32_e32 v19, v24, v20, vcc
	v_add_u32_e32 v24, 20, v23
	v_lshlrev_b64 v[27:28], v24, -1
	v_mov_b32_e32 v20, v41
	v_add_u32_e32 v24, 19, v23
	v_bfi_b32 v27, v27, 0, v19
	v_lshlrev_b64 v[56:57], v24, 1
	v_lshrrev_b64 v[19:20], v23, v[19:20]
	v_bfi_b32 v28, v28, 0, 0
	v_cmp_eq_u64_e64 s[18:19], v[27:28], v[56:57]
	v_mov_b32_e32 v28, v20
	v_mov_b32_e32 v27, v19
	s_and_saveexec_b64 s[78:79], s[18:19]
; %bb.619:                              ;   in Loop: Header=BB2_299 Depth=3
	v_bfe_u32 v20, v19, 20, 1
	v_add_co_u32_e64 v20, s[18:19], v19, v20
	v_add_co_u32_e64 v27, s[18:19], -1, v20
; %bb.620:                              ;   in Loop: Header=BB2_299 Depth=3
	s_or_b64 exec, exec, s[78:79]
	v_add_u32_e32 v4, 0xffffff81, v4
	v_cndmask_b32_e32 v4, v4, v54, vcc
	v_lshrrev_b32_e32 v20, 23, v19
	v_add3_u32 v24, v23, v4, v20
	v_add_u32_e32 v23, 6, v24
	v_and_b32_e32 v4, 0xfffff, v27
	v_add_u32_e32 v19, v4, v19
	v_mov_b32_e32 v20, v41
	v_cmp_ne_u32_e32 vcc, 0, v23
                                        ; implicit-def: $vgpr4
	s_and_saveexec_b64 s[18:19], vcc
	s_xor_b64 s[18:19], exec, s[18:19]
; %bb.621:                              ;   in Loop: Header=BB2_299 Depth=3
	v_cmp_lt_u64_e32 vcc, s[58:59], v[19:20]
	v_add_u32_e32 v4, 7, v24
	v_cndmask_b32_e32 v4, v23, v4, vcc
	v_cndmask_b32_e64 v23, 0, 1, vcc
	v_lshrrev_b64 v[19:20], v23, v[19:20]
; %bb.622:                              ;   in Loop: Header=BB2_299 Depth=3
	s_andn2_saveexec_b64 s[18:19], s[18:19]
; %bb.623:                              ;   in Loop: Header=BB2_299 Depth=3
	v_bfe_u32 v4, v19, 23, 1
; %bb.624:                              ;   in Loop: Header=BB2_299 Depth=3
	s_or_b64 exec, exec, s[18:19]
	v_lshrrev_b64 v[19:20], 20, v[19:20]
	v_cmp_gt_i32_e32 vcc, 16, v4
	v_cndmask_b32_e32 v20, 0, v20, vcc
	v_cndmask_b32_e32 v19, 7, v19, vcc
	v_cmp_eq_u32_e32 vcc, 0, v4
	v_min_i32_e32 v4, 15, v4
	v_cmp_eq_u64_e64 s[18:19], 0, v[19:20]
	v_lshlrev_b32_e32 v4, 3, v4
	v_and_b32_e32 v4, 0xf8, v4
	v_and_or_b32 v4, v19, 7, v4
	s_and_b64 s[18:19], vcc, s[18:19]
	v_cndmask_b32_e64 v4, v4, 0, s[18:19]
	v_or_b32_e32 v4, v4, v0
.LBB2_625:                              ;   in Loop: Header=BB2_299 Depth=3
	s_or_b64 exec, exec, s[76:77]
                                        ; implicit-def: $vgpr0
.LBB2_626:                              ;   in Loop: Header=BB2_299 Depth=3
	s_andn2_saveexec_b64 s[18:19], s[74:75]
; %bb.627:                              ;   in Loop: Header=BB2_299 Depth=3
	v_or_b32_e32 v4, 0x7e, v0
; %bb.628:                              ;   in Loop: Header=BB2_299 Depth=3
	s_or_b64 exec, exec, s[18:19]
                                        ; implicit-def: $vgpr19
.LBB2_629:                              ;   in Loop: Header=BB2_299 Depth=3
	s_andn2_saveexec_b64 s[18:19], s[72:73]
; %bb.630:                              ;   in Loop: Header=BB2_299 Depth=3
	v_or_b32_sdwa v4, v19, s37 dst_sel:DWORD dst_unused:UNUSED_PAD src0_sel:BYTE_3 src1_sel:DWORD
; %bb.631:                              ;   in Loop: Header=BB2_299 Depth=3
	s_or_b64 exec, exec, s[18:19]
	v_lshrrev_b16_e32 v0, 8, v21
	v_cmp_ne_u16_e32 vcc, 0, v0
	v_mov_b32_e32 v19, 0
	v_mov_b32_e32 v20, 0
	s_and_saveexec_b64 s[18:19], vcc
	s_cbranch_execz .LBB2_637
; %bb.632:                              ;   in Loop: Header=BB2_299 Depth=3
	v_cmp_ne_u16_e32 vcc, s36, v0
	v_bfrev_b32_e32 v20, 1
	s_and_saveexec_b64 s[72:73], vcc
	s_cbranch_execz .LBB2_636
; %bb.633:                              ;   in Loop: Header=BB2_299 Depth=3
	v_and_b32_e32 v23, 0x7f, v0
	v_cmp_ne_u32_e32 vcc, s37, v23
	v_mov_b32_e32 v20, 0x7f800001
	s_and_saveexec_b64 s[74:75], vcc
	s_cbranch_execz .LBB2_635
; %bb.634:                              ;   in Loop: Header=BB2_299 Depth=3
	v_and_b32_e32 v20, 7, v0
	v_lshrrev_b32_e32 v27, 3, v23
	v_cmp_gt_u32_e32 vcc, 8, v23
	v_ffbh_u32_e32 v23, v20
	v_min_u32_e32 v28, 32, v23
	v_subrev_u32_e32 v23, 28, v28
	v_lshlrev_b64 v[23:24], v23, v[0:1]
	v_sub_u32_e32 v0, 29, v28
	v_and_b32_e32 v23, 7, v23
	v_cndmask_b32_e32 v0, v27, v0, vcc
	v_cndmask_b32_e32 v20, v20, v23, vcc
	v_lshlrev_b32_e32 v23, 16, v21
	v_lshlrev_b32_e32 v20, 20, v20
	v_and_b32_e32 v23, 0x80000000, v23
	v_lshl_add_u32 v0, v0, 23, v7
	v_or3_b32 v20, v23, v0, v20
.LBB2_635:                              ;   in Loop: Header=BB2_299 Depth=3
	s_or_b64 exec, exec, s[74:75]
.LBB2_636:                              ;   in Loop: Header=BB2_299 Depth=3
	s_or_b64 exec, exec, s[72:73]
.LBB2_637:                              ;   in Loop: Header=BB2_299 Depth=3
	s_or_b64 exec, exec, s[18:19]
	v_lshrrev_b16_e32 v0, 8, v22
	v_cmp_ne_u16_e32 vcc, 0, v0
	s_and_saveexec_b64 s[18:19], vcc
	s_cbranch_execz .LBB2_643
; %bb.638:                              ;   in Loop: Header=BB2_299 Depth=3
	v_cmp_ne_u16_e32 vcc, s36, v0
	v_bfrev_b32_e32 v19, 1
	s_and_saveexec_b64 s[72:73], vcc
	s_cbranch_execz .LBB2_642
; %bb.639:                              ;   in Loop: Header=BB2_299 Depth=3
	v_and_b32_e32 v23, 0x7f, v0
	v_cmp_ne_u32_e32 vcc, s37, v23
	v_mov_b32_e32 v19, 0x7f800001
	s_and_saveexec_b64 s[74:75], vcc
	s_cbranch_execz .LBB2_641
; %bb.640:                              ;   in Loop: Header=BB2_299 Depth=3
	v_and_b32_e32 v19, 7, v0
	v_lshrrev_b32_e32 v27, 3, v23
	v_cmp_gt_u32_e32 vcc, 8, v23
	v_ffbh_u32_e32 v23, v19
	v_min_u32_e32 v28, 32, v23
	v_subrev_u32_e32 v23, 28, v28
	v_lshlrev_b64 v[23:24], v23, v[0:1]
	v_sub_u32_e32 v0, 29, v28
	v_and_b32_e32 v23, 7, v23
	v_cndmask_b32_e32 v0, v27, v0, vcc
	v_cndmask_b32_e32 v19, v19, v23, vcc
	v_lshlrev_b32_e32 v22, 16, v22
	v_lshlrev_b32_e32 v19, 20, v19
	v_and_b32_e32 v22, 0x80000000, v22
	v_lshl_add_u32 v0, v0, 23, v7
	v_or3_b32 v19, v22, v0, v19
.LBB2_641:                              ;   in Loop: Header=BB2_299 Depth=3
	s_or_b64 exec, exec, s[74:75]
.LBB2_642:                              ;   in Loop: Header=BB2_299 Depth=3
	s_or_b64 exec, exec, s[72:73]
.LBB2_643:                              ;   in Loop: Header=BB2_299 Depth=3
	s_or_b64 exec, exec, s[18:19]
	v_add_f32_e32 v19, v20, v19
	v_and_b32_e32 v22, 0x7f800000, v19
	v_mov_b32_e32 v23, v41
	v_cmp_ne_u64_e32 vcc, s[46:47], v[22:23]
                                        ; implicit-def: $vgpr22
	s_and_saveexec_b64 s[18:19], vcc
	s_xor_b64 s[72:73], exec, s[18:19]
	s_cbranch_execz .LBB2_657
; %bb.644:                              ;   in Loop: Header=BB2_299 Depth=3
	v_and_b32_e32 v22, 0x7fffffff, v19
	v_mov_b32_e32 v23, v41
	v_cmp_gt_u64_e32 vcc, s[56:57], v[22:23]
	v_and_b32_sdwa v0, v19, s36 dst_sel:DWORD dst_unused:UNUSED_PAD src0_sel:BYTE_3 src1_sel:DWORD
                                        ; implicit-def: $vgpr22
	s_and_saveexec_b64 s[18:19], vcc
	s_xor_b64 s[74:75], exec, s[18:19]
	s_cbranch_execz .LBB2_654
; %bb.645:                              ;   in Loop: Header=BB2_299 Depth=3
	v_mov_b32_e32 v22, 0
	v_cmp_ne_u32_e32 vcc, 0, v19
	s_and_saveexec_b64 s[76:77], vcc
	s_cbranch_execz .LBB2_653
; %bb.646:                              ;   in Loop: Header=BB2_299 Depth=3
	v_bfe_u32 v22, v19, 23, 8
	v_and_b32_e32 v20, 0x7fffff, v19
	v_cmp_gt_u32_e64 s[18:19], s38, v22
	v_sub_u32_e32 v19, 0x79, v22
	v_cmp_eq_u32_e32 vcc, 0, v22
	v_cndmask_b32_e64 v19, 0, v19, s[18:19]
	v_or_b32_e32 v24, 0x800000, v20
	v_cndmask_b32_e32 v23, v19, v8, vcc
	v_cndmask_b32_e32 v19, v24, v20, vcc
	v_add_u32_e32 v24, 20, v23
	v_lshlrev_b64 v[27:28], v24, -1
	v_mov_b32_e32 v20, v41
	v_add_u32_e32 v24, 19, v23
	v_bfi_b32 v27, v27, 0, v19
	v_lshlrev_b64 v[56:57], v24, 1
	v_lshrrev_b64 v[19:20], v23, v[19:20]
	v_bfi_b32 v28, v28, 0, 0
	v_cmp_eq_u64_e64 s[18:19], v[27:28], v[56:57]
	v_mov_b32_e32 v28, v20
	v_mov_b32_e32 v27, v19
	s_and_saveexec_b64 s[78:79], s[18:19]
; %bb.647:                              ;   in Loop: Header=BB2_299 Depth=3
	v_bfe_u32 v20, v19, 20, 1
	v_add_co_u32_e64 v20, s[18:19], v19, v20
	v_add_co_u32_e64 v27, s[18:19], -1, v20
; %bb.648:                              ;   in Loop: Header=BB2_299 Depth=3
	s_or_b64 exec, exec, s[78:79]
	v_add_u32_e32 v20, 0xffffff81, v22
	v_cndmask_b32_e32 v20, v20, v54, vcc
	v_lshrrev_b32_e32 v22, 23, v19
	v_add3_u32 v24, v23, v20, v22
	v_add_u32_e32 v23, 6, v24
	v_and_b32_e32 v20, 0xfffff, v27
	v_add_u32_e32 v19, v20, v19
	v_mov_b32_e32 v20, v41
	v_cmp_ne_u32_e32 vcc, 0, v23
                                        ; implicit-def: $vgpr22
	s_and_saveexec_b64 s[18:19], vcc
	s_xor_b64 s[18:19], exec, s[18:19]
; %bb.649:                              ;   in Loop: Header=BB2_299 Depth=3
	v_cmp_lt_u64_e32 vcc, s[58:59], v[19:20]
	v_add_u32_e32 v22, 7, v24
	v_cndmask_b32_e32 v22, v23, v22, vcc
	v_cndmask_b32_e64 v23, 0, 1, vcc
	v_lshrrev_b64 v[19:20], v23, v[19:20]
; %bb.650:                              ;   in Loop: Header=BB2_299 Depth=3
	s_andn2_saveexec_b64 s[18:19], s[18:19]
; %bb.651:                              ;   in Loop: Header=BB2_299 Depth=3
	v_bfe_u32 v22, v19, 23, 1
; %bb.652:                              ;   in Loop: Header=BB2_299 Depth=3
	s_or_b64 exec, exec, s[18:19]
	v_lshrrev_b64 v[19:20], 20, v[19:20]
	v_cmp_gt_i32_e32 vcc, 16, v22
	v_cndmask_b32_e32 v20, 0, v20, vcc
	v_cndmask_b32_e32 v19, 7, v19, vcc
	v_cmp_eq_u64_e64 s[18:19], 0, v[19:20]
	v_min_i32_e32 v20, 15, v22
	v_lshlrev_b32_e32 v20, 3, v20
	v_cmp_eq_u32_e32 vcc, 0, v22
	v_and_b32_e32 v20, 0xf8, v20
	v_and_or_b32 v19, v19, 7, v20
	s_and_b64 s[18:19], vcc, s[18:19]
	v_cndmask_b32_e64 v19, v19, 0, s[18:19]
	v_or_b32_e32 v22, v19, v0
.LBB2_653:                              ;   in Loop: Header=BB2_299 Depth=3
	s_or_b64 exec, exec, s[76:77]
                                        ; implicit-def: $vgpr0
.LBB2_654:                              ;   in Loop: Header=BB2_299 Depth=3
	s_andn2_saveexec_b64 s[18:19], s[74:75]
; %bb.655:                              ;   in Loop: Header=BB2_299 Depth=3
	v_or_b32_e32 v22, 0x7e, v0
; %bb.656:                              ;   in Loop: Header=BB2_299 Depth=3
	s_or_b64 exec, exec, s[18:19]
                                        ; implicit-def: $vgpr19
.LBB2_657:                              ;   in Loop: Header=BB2_299 Depth=3
	s_andn2_saveexec_b64 s[18:19], s[72:73]
; %bb.658:                              ;   in Loop: Header=BB2_299 Depth=3
	v_or_b32_sdwa v22, v19, s37 dst_sel:DWORD dst_unused:UNUSED_PAD src0_sel:BYTE_3 src1_sel:DWORD
; %bb.659:                              ;   in Loop: Header=BB2_299 Depth=3
	s_or_b64 exec, exec, s[18:19]
	v_lshrrev_b32_e32 v0, 16, v21
	v_cmp_ne_u16_sdwa s[72:73], v0, v41 src0_sel:BYTE_0 src1_sel:DWORD
	v_mov_b32_e32 v19, 0
	v_mov_b32_e32 v20, 0
	s_and_saveexec_b64 s[18:19], s[72:73]
	s_cbranch_execz .LBB2_665
; %bb.660:                              ;   in Loop: Header=BB2_299 Depth=3
	v_cmp_ne_u16_sdwa s[74:75], v0, s36 src0_sel:BYTE_0 src1_sel:DWORD
	v_bfrev_b32_e32 v20, 1
	s_and_saveexec_b64 s[72:73], s[74:75]
	s_cbranch_execz .LBB2_664
; %bb.661:                              ;   in Loop: Header=BB2_299 Depth=3
	v_bfe_u32 v23, v21, 16, 7
	v_cmp_ne_u32_e32 vcc, s37, v23
	v_mov_b32_e32 v20, 0x7f800001
	s_and_saveexec_b64 s[74:75], vcc
	s_cbranch_execz .LBB2_663
; %bb.662:                              ;   in Loop: Header=BB2_299 Depth=3
	v_and_b32_e32 v20, 7, v0
	v_lshrrev_b32_e32 v27, 3, v23
	v_cmp_gt_u32_e32 vcc, 8, v23
	v_ffbh_u32_e32 v23, v20
	v_min_u32_e32 v28, 32, v23
	v_subrev_u32_e32 v23, 28, v28
	v_lshlrev_b64 v[23:24], v23, v[0:1]
	v_sub_u32_e32 v24, 29, v28
	v_and_b32_e32 v23, 7, v23
	v_cndmask_b32_e32 v24, v27, v24, vcc
	v_cndmask_b32_e32 v20, v20, v23, vcc
	v_lshlrev_b32_e32 v0, 24, v0
	v_lshlrev_b32_e32 v20, 20, v20
	v_and_b32_e32 v0, 0x80000000, v0
	v_lshl_add_u32 v23, v24, 23, v7
	v_or3_b32 v20, v0, v23, v20
.LBB2_663:                              ;   in Loop: Header=BB2_299 Depth=3
	s_or_b64 exec, exec, s[74:75]
.LBB2_664:                              ;   in Loop: Header=BB2_299 Depth=3
	s_or_b64 exec, exec, s[72:73]
.LBB2_665:                              ;   in Loop: Header=BB2_299 Depth=3
	s_or_b64 exec, exec, s[18:19]
	v_lshrrev_b32_e32 v0, 16, v40
	v_cmp_ne_u16_sdwa s[72:73], v0, v41 src0_sel:BYTE_0 src1_sel:DWORD
	s_and_saveexec_b64 s[18:19], s[72:73]
	s_cbranch_execz .LBB2_671
; %bb.666:                              ;   in Loop: Header=BB2_299 Depth=3
	v_cmp_ne_u16_sdwa s[74:75], v0, s36 src0_sel:BYTE_0 src1_sel:DWORD
	v_bfrev_b32_e32 v19, 1
	s_and_saveexec_b64 s[72:73], s[74:75]
	s_cbranch_execz .LBB2_670
; %bb.667:                              ;   in Loop: Header=BB2_299 Depth=3
	v_bfe_u32 v23, v40, 16, 7
	v_cmp_ne_u32_e32 vcc, s37, v23
	v_mov_b32_e32 v19, 0x7f800001
	s_and_saveexec_b64 s[74:75], vcc
	s_cbranch_execz .LBB2_669
; %bb.668:                              ;   in Loop: Header=BB2_299 Depth=3
	v_and_b32_e32 v19, 7, v0
	v_lshrrev_b32_e32 v27, 3, v23
	v_cmp_gt_u32_e32 vcc, 8, v23
	v_ffbh_u32_e32 v23, v19
	v_min_u32_e32 v28, 32, v23
	v_subrev_u32_e32 v23, 28, v28
	v_lshlrev_b64 v[23:24], v23, v[0:1]
	v_sub_u32_e32 v0, 29, v28
	v_and_b32_e32 v23, 7, v23
	v_cndmask_b32_e32 v0, v27, v0, vcc
	v_cndmask_b32_e32 v19, v19, v23, vcc
	v_lshlrev_b32_e32 v23, 8, v40
	v_lshlrev_b32_e32 v19, 20, v19
	v_and_b32_e32 v23, 0x80000000, v23
	v_lshl_add_u32 v0, v0, 23, v7
	v_or3_b32 v19, v23, v0, v19
.LBB2_669:                              ;   in Loop: Header=BB2_299 Depth=3
	s_or_b64 exec, exec, s[74:75]
.LBB2_670:                              ;   in Loop: Header=BB2_299 Depth=3
	s_or_b64 exec, exec, s[72:73]
.LBB2_671:                              ;   in Loop: Header=BB2_299 Depth=3
	s_or_b64 exec, exec, s[18:19]
	v_add_f32_e32 v19, v20, v19
	v_and_b32_e32 v23, 0x7f800000, v19
	v_mov_b32_e32 v24, v41
	v_cmp_ne_u64_e32 vcc, s[46:47], v[23:24]
                                        ; implicit-def: $vgpr27
	s_and_saveexec_b64 s[18:19], vcc
	s_xor_b64 s[72:73], exec, s[18:19]
	s_cbranch_execz .LBB2_685
; %bb.672:                              ;   in Loop: Header=BB2_299 Depth=3
	v_and_b32_e32 v23, 0x7fffffff, v19
	v_mov_b32_e32 v24, v41
	v_cmp_gt_u64_e32 vcc, s[56:57], v[23:24]
	v_and_b32_sdwa v0, v19, s36 dst_sel:DWORD dst_unused:UNUSED_PAD src0_sel:BYTE_3 src1_sel:DWORD
                                        ; implicit-def: $vgpr27
	s_and_saveexec_b64 s[18:19], vcc
	s_xor_b64 s[74:75], exec, s[18:19]
	s_cbranch_execz .LBB2_682
; %bb.673:                              ;   in Loop: Header=BB2_299 Depth=3
	v_mov_b32_e32 v27, 0
	v_cmp_ne_u32_e32 vcc, 0, v19
	s_and_saveexec_b64 s[76:77], vcc
	s_cbranch_execz .LBB2_681
; %bb.674:                              ;   in Loop: Header=BB2_299 Depth=3
	v_bfe_u32 v31, v19, 23, 8
	v_and_b32_e32 v20, 0x7fffff, v19
	v_cmp_gt_u32_e64 s[18:19], s38, v31
	v_sub_u32_e32 v19, 0x79, v31
	v_cmp_eq_u32_e32 vcc, 0, v31
	v_cndmask_b32_e64 v19, 0, v19, s[18:19]
	v_or_b32_e32 v24, 0x800000, v20
	v_cndmask_b32_e32 v23, v19, v8, vcc
	v_cndmask_b32_e32 v19, v24, v20, vcc
	v_add_u32_e32 v24, 20, v23
	v_lshlrev_b64 v[27:28], v24, -1
	v_mov_b32_e32 v20, v41
	v_add_u32_e32 v24, 19, v23
	v_bfi_b32 v27, v27, 0, v19
	v_lshlrev_b64 v[56:57], v24, 1
	v_lshrrev_b64 v[19:20], v23, v[19:20]
	v_bfi_b32 v28, v28, 0, 0
	v_cmp_eq_u64_e64 s[18:19], v[27:28], v[56:57]
	v_mov_b32_e32 v28, v20
	v_mov_b32_e32 v27, v19
	s_and_saveexec_b64 s[78:79], s[18:19]
; %bb.675:                              ;   in Loop: Header=BB2_299 Depth=3
	v_bfe_u32 v20, v19, 20, 1
	v_add_co_u32_e64 v20, s[18:19], v19, v20
	v_add_co_u32_e64 v27, s[18:19], -1, v20
; %bb.676:                              ;   in Loop: Header=BB2_299 Depth=3
	s_or_b64 exec, exec, s[78:79]
	v_add_u32_e32 v20, 0xffffff81, v31
	v_cndmask_b32_e32 v20, v20, v54, vcc
	v_lshrrev_b32_e32 v24, 23, v19
	v_add3_u32 v24, v23, v20, v24
	v_add_u32_e32 v23, 6, v24
	v_and_b32_e32 v20, 0xfffff, v27
	v_add_u32_e32 v19, v20, v19
	v_mov_b32_e32 v20, v41
	v_cmp_ne_u32_e32 vcc, 0, v23
                                        ; implicit-def: $vgpr27
	s_and_saveexec_b64 s[18:19], vcc
	s_xor_b64 s[18:19], exec, s[18:19]
; %bb.677:                              ;   in Loop: Header=BB2_299 Depth=3
	v_cmp_lt_u64_e32 vcc, s[58:59], v[19:20]
	v_add_u32_e32 v24, 7, v24
	v_cndmask_b32_e32 v27, v23, v24, vcc
	v_cndmask_b32_e64 v23, 0, 1, vcc
	v_lshrrev_b64 v[19:20], v23, v[19:20]
; %bb.678:                              ;   in Loop: Header=BB2_299 Depth=3
	s_andn2_saveexec_b64 s[18:19], s[18:19]
; %bb.679:                              ;   in Loop: Header=BB2_299 Depth=3
	v_bfe_u32 v27, v19, 23, 1
; %bb.680:                              ;   in Loop: Header=BB2_299 Depth=3
	s_or_b64 exec, exec, s[18:19]
	v_lshrrev_b64 v[19:20], 20, v[19:20]
	v_cmp_gt_i32_e32 vcc, 16, v27
	v_cndmask_b32_e32 v20, 0, v20, vcc
	v_cndmask_b32_e32 v19, 7, v19, vcc
	v_cmp_eq_u64_e64 s[18:19], 0, v[19:20]
	v_min_i32_e32 v20, 15, v27
	v_lshlrev_b32_e32 v20, 3, v20
	v_cmp_eq_u32_e32 vcc, 0, v27
	v_and_b32_e32 v20, 0xf8, v20
	v_and_or_b32 v19, v19, 7, v20
	s_and_b64 s[18:19], vcc, s[18:19]
	v_cndmask_b32_e64 v19, v19, 0, s[18:19]
	v_or_b32_e32 v27, v19, v0
.LBB2_681:                              ;   in Loop: Header=BB2_299 Depth=3
	s_or_b64 exec, exec, s[76:77]
                                        ; implicit-def: $vgpr0
.LBB2_682:                              ;   in Loop: Header=BB2_299 Depth=3
	s_andn2_saveexec_b64 s[18:19], s[74:75]
; %bb.683:                              ;   in Loop: Header=BB2_299 Depth=3
	v_or_b32_e32 v27, 0x7e, v0
; %bb.684:                              ;   in Loop: Header=BB2_299 Depth=3
	s_or_b64 exec, exec, s[18:19]
                                        ; implicit-def: $vgpr19
.LBB2_685:                              ;   in Loop: Header=BB2_299 Depth=3
	s_andn2_saveexec_b64 s[18:19], s[72:73]
; %bb.686:                              ;   in Loop: Header=BB2_299 Depth=3
	v_or_b32_sdwa v27, v19, s37 dst_sel:DWORD dst_unused:UNUSED_PAD src0_sel:BYTE_3 src1_sel:DWORD
; %bb.687:                              ;   in Loop: Header=BB2_299 Depth=3
	s_or_b64 exec, exec, s[18:19]
	v_and_b32_e32 v19, 0xff000000, v21
	v_mov_b32_e32 v20, v41
	v_cmp_ne_u64_e32 vcc, 0, v[19:20]
	v_mov_b32_e32 v19, 0
	v_mov_b32_e32 v20, 0
	s_and_saveexec_b64 s[18:19], vcc
	s_cbranch_execz .LBB2_693
; %bb.688:                              ;   in Loop: Header=BB2_299 Depth=3
	v_lshrrev_b32_e32 v0, 24, v21
	v_cmp_ne_u32_e32 vcc, s36, v0
	v_bfrev_b32_e32 v20, 1
	s_and_saveexec_b64 s[72:73], vcc
	s_cbranch_execz .LBB2_692
; %bb.689:                              ;   in Loop: Header=BB2_299 Depth=3
	v_bfe_u32 v21, v21, 24, 7
	v_cmp_ne_u32_e32 vcc, s37, v21
	v_mov_b32_e32 v20, 0x7f800001
	s_and_saveexec_b64 s[74:75], vcc
	s_cbranch_execz .LBB2_691
; %bb.690:                              ;   in Loop: Header=BB2_299 Depth=3
	v_and_b32_e32 v23, 7, v0
	v_ffbh_u32_e32 v20, v23
	v_min_u32_e32 v28, 32, v20
	v_subrev_u32_e32 v20, 28, v28
	v_lshrrev_b32_e32 v24, 3, v21
	v_cmp_gt_u32_e32 vcc, 8, v21
	v_lshlrev_b64 v[20:21], v20, v[0:1]
	v_sub_u32_e32 v21, 29, v28
	v_and_b32_e32 v20, 7, v20
	v_cndmask_b32_e32 v21, v24, v21, vcc
	v_cndmask_b32_e32 v20, v23, v20, vcc
	v_lshlrev_b32_e32 v0, 24, v0
	v_lshlrev_b32_e32 v20, 20, v20
	v_and_b32_e32 v0, 0x80000000, v0
	v_lshl_add_u32 v21, v21, 23, v7
	v_or3_b32 v20, v0, v21, v20
.LBB2_691:                              ;   in Loop: Header=BB2_299 Depth=3
	s_or_b64 exec, exec, s[74:75]
.LBB2_692:                              ;   in Loop: Header=BB2_299 Depth=3
	s_or_b64 exec, exec, s[72:73]
.LBB2_693:                              ;   in Loop: Header=BB2_299 Depth=3
	s_or_b64 exec, exec, s[18:19]
	v_cmp_lt_u32_e32 vcc, s39, v40
	s_and_saveexec_b64 s[18:19], vcc
	s_cbranch_execz .LBB2_699
; %bb.694:                              ;   in Loop: Header=BB2_299 Depth=3
	v_lshrrev_b32_e32 v0, 24, v40
	v_cmp_ne_u32_sdwa s[74:75], v40, s36 src0_sel:BYTE_3 src1_sel:DWORD
	v_bfrev_b32_e32 v19, 1
	s_and_saveexec_b64 s[72:73], s[74:75]
	s_cbranch_execz .LBB2_698
; %bb.695:                              ;   in Loop: Header=BB2_299 Depth=3
	v_bfe_u32 v21, v40, 24, 7
	v_cmp_ne_u32_e32 vcc, s37, v21
	v_mov_b32_e32 v19, 0x7f800001
	s_and_saveexec_b64 s[74:75], vcc
	s_cbranch_execz .LBB2_697
; %bb.696:                              ;   in Loop: Header=BB2_299 Depth=3
	v_and_b32_e32 v19, 7, v0
	v_lshrrev_b32_e32 v28, 3, v21
	v_cmp_gt_u32_e32 vcc, 8, v21
	v_ffbh_u32_e32 v21, v19
	v_min_u32_e32 v21, 32, v21
	v_subrev_u32_e32 v23, 28, v21
	v_lshlrev_b64 v[23:24], v23, v[0:1]
	v_sub_u32_e32 v0, 29, v21
	v_and_b32_e32 v21, 7, v23
	v_cndmask_b32_e32 v0, v28, v0, vcc
	v_cndmask_b32_e32 v19, v19, v21, vcc
	v_lshlrev_b32_sdwa v21, v55, v40 dst_sel:DWORD dst_unused:UNUSED_PAD src0_sel:DWORD src1_sel:BYTE_3
	v_lshlrev_b32_e32 v19, 20, v19
	v_and_b32_e32 v21, 0x80000000, v21
	v_lshl_add_u32 v0, v0, 23, v7
	v_or3_b32 v19, v21, v0, v19
.LBB2_697:                              ;   in Loop: Header=BB2_299 Depth=3
	s_or_b64 exec, exec, s[74:75]
.LBB2_698:                              ;   in Loop: Header=BB2_299 Depth=3
	s_or_b64 exec, exec, s[72:73]
.LBB2_699:                              ;   in Loop: Header=BB2_299 Depth=3
	s_or_b64 exec, exec, s[18:19]
	v_add_f32_e32 v20, v20, v19
	v_and_b32_e32 v40, 0x7f800000, v20
	v_cmp_ne_u64_e32 vcc, s[46:47], v[40:41]
                                        ; implicit-def: $vgpr19
	s_and_saveexec_b64 s[18:19], vcc
	s_xor_b64 s[72:73], exec, s[18:19]
	s_cbranch_execz .LBB2_713
; %bb.700:                              ;   in Loop: Header=BB2_299 Depth=3
	v_and_b32_e32 v40, 0x7fffffff, v20
	v_cmp_gt_u64_e32 vcc, s[56:57], v[40:41]
	v_and_b32_sdwa v0, v20, s36 dst_sel:DWORD dst_unused:UNUSED_PAD src0_sel:BYTE_3 src1_sel:DWORD
                                        ; implicit-def: $vgpr19
	s_and_saveexec_b64 s[18:19], vcc
	s_xor_b64 s[74:75], exec, s[18:19]
	s_cbranch_execz .LBB2_710
; %bb.701:                              ;   in Loop: Header=BB2_299 Depth=3
	v_mov_b32_e32 v19, 0
	v_cmp_ne_u32_e32 vcc, 0, v20
	s_and_saveexec_b64 s[76:77], vcc
	s_cbranch_execz .LBB2_709
; %bb.702:                              ;   in Loop: Header=BB2_299 Depth=3
	v_bfe_u32 v28, v20, 23, 8
	v_and_b32_e32 v19, 0x7fffff, v20
	v_cmp_gt_u32_e64 s[18:19], s38, v28
	v_sub_u32_e32 v20, 0x79, v28
	v_cmp_eq_u32_e32 vcc, 0, v28
	v_cndmask_b32_e64 v20, 0, v20, s[18:19]
	v_or_b32_e32 v21, 0x800000, v19
	v_cndmask_b32_e32 v23, v20, v8, vcc
	v_cndmask_b32_e32 v40, v21, v19, vcc
	v_add_u32_e32 v19, 20, v23
	v_lshlrev_b64 v[19:20], v19, -1
	v_add_u32_e32 v21, 19, v23
	v_lshlrev_b64 v[56:57], v21, 1
	v_bfi_b32 v20, v20, 0, 0
	v_bfi_b32 v19, v19, 0, v40
	v_cmp_eq_u64_e64 s[18:19], v[19:20], v[56:57]
	v_lshrrev_b64 v[19:20], v23, v[40:41]
	v_mov_b32_e32 v21, v20
	v_mov_b32_e32 v20, v19
	s_and_saveexec_b64 s[78:79], s[18:19]
; %bb.703:                              ;   in Loop: Header=BB2_299 Depth=3
	v_bfe_u32 v20, v19, 20, 1
	v_add_co_u32_e64 v20, s[18:19], v19, v20
	v_add_co_u32_e64 v20, s[18:19], -1, v20
; %bb.704:                              ;   in Loop: Header=BB2_299 Depth=3
	s_or_b64 exec, exec, s[78:79]
	v_add_u32_e32 v21, 0xffffff81, v28
	v_cndmask_b32_e32 v21, v21, v54, vcc
	v_lshrrev_b32_e32 v24, 23, v19
	v_add3_u32 v24, v23, v21, v24
	v_add_u32_e32 v23, 6, v24
	v_and_b32_e32 v20, 0xfffff, v20
	v_add_u32_e32 v40, v20, v19
	v_cmp_ne_u32_e32 vcc, 0, v23
                                        ; implicit-def: $vgpr19_vgpr20
                                        ; implicit-def: $vgpr21
	s_and_saveexec_b64 s[18:19], vcc
	s_xor_b64 s[18:19], exec, s[18:19]
; %bb.705:                              ;   in Loop: Header=BB2_299 Depth=3
	v_cmp_lt_u64_e32 vcc, s[58:59], v[40:41]
	v_add_u32_e32 v19, 7, v24
	v_cndmask_b32_e32 v21, v23, v19, vcc
	v_cndmask_b32_e64 v19, 0, 1, vcc
	v_lshrrev_b64 v[19:20], v19, v[40:41]
; %bb.706:                              ;   in Loop: Header=BB2_299 Depth=3
	s_andn2_saveexec_b64 s[18:19], s[18:19]
; %bb.707:                              ;   in Loop: Header=BB2_299 Depth=3
	v_mov_b32_e32 v19, v40
	v_bfe_u32 v21, v40, 23, 1
	v_mov_b32_e32 v20, v41
; %bb.708:                              ;   in Loop: Header=BB2_299 Depth=3
	s_or_b64 exec, exec, s[18:19]
	v_lshrrev_b64 v[19:20], 20, v[19:20]
	v_cmp_gt_i32_e32 vcc, 16, v21
	v_cndmask_b32_e32 v20, 0, v20, vcc
	v_cndmask_b32_e32 v19, 7, v19, vcc
	v_cmp_eq_u64_e64 s[18:19], 0, v[19:20]
	v_min_i32_e32 v20, 15, v21
	v_lshlrev_b32_e32 v20, 3, v20
	v_cmp_eq_u32_e32 vcc, 0, v21
	v_and_b32_e32 v20, 0xf8, v20
	v_and_or_b32 v19, v19, 7, v20
	s_and_b64 s[18:19], vcc, s[18:19]
	v_cndmask_b32_e64 v19, v19, 0, s[18:19]
	v_or_b32_e32 v19, v19, v0
.LBB2_709:                              ;   in Loop: Header=BB2_299 Depth=3
	s_or_b64 exec, exec, s[76:77]
                                        ; implicit-def: $vgpr0
.LBB2_710:                              ;   in Loop: Header=BB2_299 Depth=3
	s_andn2_saveexec_b64 s[18:19], s[74:75]
; %bb.711:                              ;   in Loop: Header=BB2_299 Depth=3
	v_or_b32_e32 v19, 0x7e, v0
; %bb.712:                              ;   in Loop: Header=BB2_299 Depth=3
	s_or_b64 exec, exec, s[18:19]
                                        ; implicit-def: $vgpr20
.LBB2_713:                              ;   in Loop: Header=BB2_299 Depth=3
	s_andn2_saveexec_b64 s[18:19], s[72:73]
	s_cbranch_execz .LBB2_298
; %bb.714:                              ;   in Loop: Header=BB2_299 Depth=3
	v_or_b32_sdwa v19, v20, s37 dst_sel:DWORD dst_unused:UNUSED_PAD src0_sel:BYTE_3 src1_sel:DWORD
	s_branch .LBB2_298
.LBB2_715:                              ;   in Loop: Header=BB2_255 Depth=2
	s_or_b64 exec, exec, s[62:63]
	v_mov_b32_e32 v61, v37
	v_mov_b32_e32 v60, v36
	s_or_b64 exec, exec, s[60:61]
	s_and_saveexec_b64 s[18:19], s[10:11]
	s_cbranch_execz .LBB2_292
.LBB2_716:                              ;   in Loop: Header=BB2_255 Depth=2
	s_and_saveexec_b64 s[60:61], s[40:41]
	s_xor_b64 s[60:61], exec, s[60:61]
	s_cbranch_execz .LBB2_731
; %bb.717:                              ;   in Loop: Header=BB2_255 Depth=2
	s_and_saveexec_b64 s[62:63], s[12:13]
	s_cbranch_execz .LBB2_730
; %bb.718:                              ;   in Loop: Header=BB2_255 Depth=2
	s_mov_b64 s[74:75], exec
	s_waitcnt vmcnt(0) lgkmcnt(0)
	v_mbcnt_lo_u32_b32 v0, s74, 0
	v_mbcnt_hi_u32_b32 v0, s75, v0
	v_cmp_eq_u32_e32 vcc, 0, v0
	buffer_wbinvl1_vol
	s_and_saveexec_b64 s[72:73], vcc
	s_cbranch_execz .LBB2_720
; %bb.719:                              ;   in Loop: Header=BB2_255 Depth=2
	s_bcnt1_i32_b64 s26, s[74:75]
	v_mov_b32_e32 v40, s26
	ds_add_u64 v0, v[40:41]
	s_trap 2
.LBB2_720:                              ;   in Loop: Header=BB2_255 Depth=2
	s_or_b64 exec, exec, s[72:73]
	s_trap 2
	ds_read_b64 v[9:10], v0
	s_waitcnt lgkmcnt(0)
	buffer_load_dword v0, off, s[0:3], s32 offset:116 ; 4-byte Folded Reload
	s_waitcnt vmcnt(0)
	v_add_co_u32_e32 v2, vcc, v2, v0
	v_addc_co_u32_e32 v3, vcc, 0, v3, vcc
	v_cmp_lt_u64_e32 vcc, v[9:10], v[2:3]
	s_and_saveexec_b64 s[72:73], vcc
	s_cbranch_execz .LBB2_729
; %bb.721:                              ;   in Loop: Header=BB2_255 Depth=2
	s_mov_b32 s26, 0
	s_mov_b64 s[74:75], 0
                                        ; implicit-def: $sgpr76_sgpr77
                                        ; implicit-def: $sgpr78_sgpr79
	s_branch .LBB2_723
.LBB2_722:                              ;   in Loop: Header=BB2_723 Depth=3
	s_or_b64 exec, exec, s[90:91]
	s_and_b64 s[88:89], exec, s[92:93]
	s_or_b64 s[74:75], s[88:89], s[74:75]
	s_andn2_b64 s[76:77], s[76:77], exec
	s_and_b64 s[88:89], s[78:79], exec
	s_or_b64 s[76:77], s[76:77], s[88:89]
	s_andn2_b64 exec, exec, s[74:75]
	s_cbranch_execz .LBB2_727
.LBB2_723:                              ;   Parent Loop BB2_30 Depth=1
                                        ;     Parent Loop BB2_255 Depth=2
                                        ; =>    This Inner Loop Header: Depth=3
	s_add_i32 s26, s26, 1
	s_cmpk_lg_i32 s26, 0x2710
	s_cselect_b64 s[88:89], -1, 0
	s_and_b64 vcc, exec, s[88:89]
	s_cbranch_vccz .LBB2_725
; %bb.724:                              ;   in Loop: Header=BB2_723 Depth=3
	s_mov_b64 s[92:93], -1
	s_or_b64 s[78:79], s[78:79], exec
	s_and_saveexec_b64 s[90:91], s[88:89]
	s_cbranch_execz .LBB2_722
	s_branch .LBB2_726
.LBB2_725:                              ;   in Loop: Header=BB2_723 Depth=3
	s_trap 2
	ds_read_b64 v[9:10], v0
	s_andn2_b64 s[88:89], s[88:89], exec
	s_mov_b32 s26, 0
	s_waitcnt lgkmcnt(0)
	flat_load_dword v0, v[9:10] glc
	s_waitcnt vmcnt(0) lgkmcnt(0)
	buffer_wbinvl1_vol
	v_cmp_eq_u32_e32 vcc, 0, v0
	s_and_b64 s[90:91], vcc, exec
	s_or_b64 s[88:89], s[88:89], s[90:91]
	s_mov_b64 s[92:93], -1
	s_or_b64 s[78:79], s[78:79], exec
	s_and_saveexec_b64 s[90:91], s[88:89]
	s_cbranch_execz .LBB2_722
.LBB2_726:                              ;   in Loop: Header=BB2_723 Depth=3
	s_sleep 1
	s_trap 2
	ds_read_b64 v[9:10], v0
	s_waitcnt lgkmcnt(0)
	s_andn2_b64 s[78:79], s[78:79], exec
	v_cmp_ge_u64_e32 vcc, v[9:10], v[2:3]
	s_orn2_b64 s[92:93], vcc, exec
	s_branch .LBB2_722
.LBB2_727:                              ;   in Loop: Header=BB2_255 Depth=2
	s_or_b64 exec, exec, s[74:75]
	s_and_saveexec_b64 s[74:75], s[76:77]
	s_xor_b64 s[74:75], exec, s[74:75]
	s_cbranch_execz .LBB2_729
; %bb.728:                              ;   in Loop: Header=BB2_255 Depth=2
	v_mov_b32_e32 v0, 1
	ds_write_b32 v0, v0
	s_trap 2
.LBB2_729:                              ;   in Loop: Header=BB2_255 Depth=2
	s_or_b64 exec, exec, s[72:73]
	;;#ASMSTART
	s_wakeup
	;;#ASMEND
.LBB2_730:                              ;   in Loop: Header=BB2_255 Depth=2
	s_or_b64 exec, exec, s[62:63]
.LBB2_731:                              ;   in Loop: Header=BB2_255 Depth=2
	s_andn2_saveexec_b64 s[60:61], s[60:61]
	s_cbranch_execz .LBB2_733
; %bb.732:                              ;   in Loop: Header=BB2_255 Depth=2
	s_waitcnt vmcnt(0) lgkmcnt(0)
	buffer_wbinvl1_vol
	s_barrier
.LBB2_733:                              ;   in Loop: Header=BB2_255 Depth=2
	s_or_b64 exec, exec, s[60:61]
	s_or_b64 exec, exec, s[18:19]
	s_and_saveexec_b64 s[18:19], s[14:15]
	s_cbranch_execnz .LBB2_293
	s_branch .LBB2_294
.LBB2_734:                              ;   in Loop: Header=BB2_30 Depth=1
	v_mov_b32_e32 v21, v46
	v_mov_b32_e32 v22, v47
	s_and_saveexec_b64 s[18:19], s[16:17]
	s_cbranch_execnz .LBB2_736
	s_branch .LBB2_1173
.LBB2_735:                              ;   in Loop: Header=BB2_30 Depth=1
	buffer_load_dword v23, off, s[0:3], s32 offset:180 ; 4-byte Folded Reload
	buffer_load_dword v24, off, s[0:3], s32 offset:184 ; 4-byte Folded Reload
	v_mov_b32_e32 v21, v46
	v_mov_b32_e32 v22, v47
	s_and_saveexec_b64 s[18:19], s[16:17]
	s_cbranch_execz .LBB2_1173
.LBB2_736:                              ;   in Loop: Header=BB2_30 Depth=1
	s_waitcnt lgkmcnt(0)
	flat_load_dword v0, v[60:61]
	buffer_load_dword v17, off, s[0:3], s32 offset:188 ; 4-byte Folded Reload
	buffer_load_dword v18, off, s[0:3], s32 offset:192 ; 4-byte Folded Reload
	;; [unrolled: 1-line block ×6, first 2 shown]
	v_add_u32_e32 v59, 1, v34
	s_mov_b64 s[60:61], 0
	s_waitcnt vmcnt(0) lgkmcnt(0)
	v_ashrrev_i32_e32 v4, 31, v0
	v_mov_b32_e32 v9, v19
	v_mov_b32_e32 v10, v20
	v_add_co_u32_e32 v9, vcc, v9, v23
	v_addc_co_u32_e32 v10, vcc, v10, v24, vcc
	v_mul_lo_u32 v11, v11, v0
	v_mul_lo_u32 v4, v17, v4
	v_mad_u64_u32 v[9:10], s[16:17], v17, v0, v[9:10]
	v_add3_u32 v0, v11, v10, v4
	buffer_load_dword v4, off, s[0:3], s32 offset:136 ; 4-byte Folded Reload
	s_waitcnt vmcnt(0)
	v_add_co_u32_e32 v49, vcc, v9, v4
	v_addc_co_u32_e32 v42, vcc, 0, v0, vcc
	buffer_load_dword v0, off, s[0:3], s32 offset:212 ; 4-byte Folded Reload
	s_waitcnt vmcnt(0)
	v_add_co_u32_e32 v46, vcc, v0, v23
	buffer_load_dword v0, off, s[0:3], s32 offset:216 ; 4-byte Folded Reload
	buffer_load_dword v17, off, s[0:3], s32 offset:96 ; 4-byte Folded Reload
	buffer_load_dword v18, off, s[0:3], s32 offset:100 ; 4-byte Folded Reload
	buffer_load_dword v56, off, s[0:3], s32 offset:60 ; 4-byte Folded Reload
	buffer_load_dword v57, off, s[0:3], s32 offset:64 ; 4-byte Folded Reload
	s_waitcnt vmcnt(4)
	v_addc_co_u32_e32 v47, vcc, v0, v24, vcc
	v_and_b32_e32 v0, 7, v34
	v_mul_lo_u32 v9, v0, s34
	v_ashrrev_i32_e32 v10, 31, v9
	v_lshlrev_b64 v[9:10], 4, v[9:10]
	s_waitcnt vmcnt(3)
	v_add_co_u32_e32 v43, vcc, v17, v9
	s_waitcnt vmcnt(2)
	v_addc_co_u32_e32 v58, vcc, v18, v10, vcc
	s_branch .LBB2_738
.LBB2_737:                              ;   in Loop: Header=BB2_738 Depth=2
	v_add_co_u32_e32 v49, vcc, v49, v25
	v_addc_co_u32_e32 v42, vcc, 0, v42, vcc
	v_add_co_u32_e32 v46, vcc, v46, v25
	v_addc_co_u32_e32 v47, vcc, 0, v47, vcc
	v_sub_u32_e32 v48, v48, v25
	v_cmp_gt_i32_e32 vcc, 1, v48
	s_or_b64 s[60:61], vcc, s[60:61]
	v_add_u32_e32 v56, v56, v1
	s_andn2_b64 exec, exec, s[60:61]
	s_cbranch_execz .LBB2_1172
.LBB2_738:                              ;   Parent Loop BB2_30 Depth=1
                                        ; =>  This Loop Header: Depth=2
                                        ;       Child Loop BB2_746 Depth 3
	v_and_b32_e32 v17, -4, v49
	v_mov_b32_e32 v18, v42
	global_load_dword v0, v[17:18], off glc slc
	v_min_u32_e32 v4, 8, v48
	v_and_b32_e32 v9, 3, v49
	v_add_u32_e32 v40, v9, v4
	v_cmp_lt_u32_e32 vcc, 4, v40
	v_mov_b32_e32 v10, 0
	v_mov_b32_e32 v26, 0
	s_and_saveexec_b64 s[16:17], vcc
	s_cbranch_execz .LBB2_740
; %bb.739:                              ;   in Loop: Header=BB2_738 Depth=2
	global_load_dword v26, v[17:18], off offset:4 glc slc
.LBB2_740:                              ;   in Loop: Header=BB2_738 Depth=2
	s_or_b64 exec, exec, s[16:17]
	v_cmp_lt_u64_e32 vcc, 8, v[40:41]
	s_and_saveexec_b64 s[16:17], vcc
	s_cbranch_execz .LBB2_742
; %bb.741:                              ;   in Loop: Header=BB2_738 Depth=2
	global_load_dword v10, v[17:18], off offset:8 glc slc
.LBB2_742:                              ;   in Loop: Header=BB2_738 Depth=2
	s_or_b64 exec, exec, s[16:17]
	s_waitcnt vmcnt(0)
	v_mov_b32_e32 v57, v41
	v_lshlrev_b64 v[17:18], 4, v[56:57]
	v_add_co_u32_e32 v29, vcc, v43, v17
	v_addc_co_u32_e32 v30, vcc, v58, v18, vcc
	global_load_dwordx4 v[17:20], v[29:30], off glc slc
	v_cmp_eq_u32_e32 vcc, 0, v12
	v_mov_b32_e32 v12, 1
	s_and_saveexec_b64 s[62:63], vcc
	s_cbranch_execz .LBB2_754
; %bb.743:                              ;   in Loop: Header=BB2_738 Depth=2
	s_waitcnt vmcnt(0)
	v_cmp_ne_u32_e32 vcc, v59, v18
	v_cmp_ne_u32_e64 s[16:17], v59, v20
	s_or_b64 s[16:17], vcc, s[16:17]
	v_mov_b32_e32 v12, 0
	s_and_saveexec_b64 s[72:73], s[16:17]
	s_cbranch_execz .LBB2_753
; %bb.744:                              ;   in Loop: Header=BB2_738 Depth=2
	s_mov_b32 s26, 1
	s_mov_b64 s[76:77], 0
                                        ; implicit-def: $sgpr74_sgpr75
                                        ; implicit-def: $sgpr78_sgpr79
	s_branch .LBB2_746
.LBB2_745:                              ;   in Loop: Header=BB2_746 Depth=3
	s_or_b64 exec, exec, s[90:91]
	s_and_b64 s[16:17], exec, s[16:17]
	s_or_b64 s[76:77], s[16:17], s[76:77]
	s_andn2_b64 s[16:17], s[74:75], exec
	s_and_b64 s[74:75], s[78:79], exec
	s_or_b64 s[74:75], s[16:17], s[74:75]
	s_andn2_b64 exec, exec, s[76:77]
	s_cbranch_execz .LBB2_750
.LBB2_746:                              ;   Parent Loop BB2_30 Depth=1
                                        ;     Parent Loop BB2_738 Depth=2
                                        ; =>    This Inner Loop Header: Depth=3
	global_load_dwordx4 v[17:20], v[29:30], off glc slc
	s_add_i32 s26, s26, 1
	s_mov_b64 s[16:17], -1
	s_cmpk_lg_i32 s26, 0x2710
	s_mov_b64 s[88:89], -1
                                        ; implicit-def: $vgpr4
	s_cbranch_scc0 .LBB2_748
; %bb.747:                              ;   in Loop: Header=BB2_746 Depth=3
	s_or_b64 s[78:79], s[78:79], exec
	s_and_saveexec_b64 s[90:91], s[88:89]
	s_cbranch_execz .LBB2_745
	s_branch .LBB2_749
.LBB2_748:                              ;   in Loop: Header=BB2_746 Depth=3
	s_trap 2
	ds_read_b64 v[11:12], v0
	s_mov_b32 s26, 0
	s_waitcnt vmcnt(0) lgkmcnt(0)
	flat_load_dword v4, v[11:12] glc
	s_waitcnt vmcnt(0) lgkmcnt(0)
	buffer_wbinvl1_vol
	v_cmp_eq_u32_e32 vcc, 0, v4
	s_orn2_b64 s[88:89], vcc, exec
	s_or_b64 s[78:79], s[78:79], exec
	s_and_saveexec_b64 s[90:91], s[88:89]
	s_cbranch_execz .LBB2_745
.LBB2_749:                              ;   in Loop: Header=BB2_746 Depth=3
	s_waitcnt vmcnt(0)
	v_cmp_eq_u32_e32 vcc, v59, v18
	v_cmp_eq_u32_e64 s[16:17], v59, v20
	s_and_b64 s[16:17], vcc, s[16:17]
	s_andn2_b64 s[78:79], s[78:79], exec
	s_orn2_b64 s[16:17], s[16:17], exec
	s_branch .LBB2_745
.LBB2_750:                              ;   in Loop: Header=BB2_738 Depth=2
	s_or_b64 exec, exec, s[76:77]
	v_mov_b32_e32 v12, 0
	s_and_saveexec_b64 s[16:17], s[74:75]
	s_xor_b64 s[16:17], exec, s[16:17]
	s_cbranch_execz .LBB2_752
; %bb.751:                              ;   in Loop: Header=BB2_738 Depth=2
	v_mov_b32_e32 v12, 1
	ds_write_b32 v0, v4
	s_trap 2
.LBB2_752:                              ;   in Loop: Header=BB2_738 Depth=2
	s_or_b64 exec, exec, s[16:17]
.LBB2_753:                              ;   in Loop: Header=BB2_738 Depth=2
	s_or_b64 exec, exec, s[72:73]
.LBB2_754:                              ;   in Loop: Header=BB2_738 Depth=2
	s_or_b64 exec, exec, s[62:63]
	v_lshlrev_b32_e32 v4, 3, v49
	s_waitcnt vmcnt(0)
	v_alignbit_b32 v40, v26, v0, v4
	v_cmp_ne_u16_sdwa s[62:63], v40, v41 src0_sel:BYTE_0 src1_sel:DWORD
	v_mov_b32_e32 v0, 0
	s_and_saveexec_b64 s[16:17], s[62:63]
	s_cbranch_execz .LBB2_760
; %bb.755:                              ;   in Loop: Header=BB2_738 Depth=2
	v_cmp_ne_u16_sdwa s[72:73], v40, s36 src0_sel:BYTE_0 src1_sel:DWORD
	v_bfrev_b32_e32 v0, 1
	s_and_saveexec_b64 s[62:63], s[72:73]
	s_cbranch_execz .LBB2_759
; %bb.756:                              ;   in Loop: Header=BB2_738 Depth=2
	v_and_b32_e32 v9, 0x7f, v40
	v_cmp_ne_u32_e32 vcc, s37, v9
	v_mov_b32_e32 v0, 0x7f800001
	s_and_saveexec_b64 s[72:73], vcc
	s_cbranch_execz .LBB2_758
; %bb.757:                              ;   in Loop: Header=BB2_738 Depth=2
	v_and_b32_e32 v0, 7, v40
	v_ffbh_u32_e32 v0, v0
	v_min_u32_e32 v0, 32, v0
	v_lshrrev_b32_e32 v11, 3, v9
	v_cmp_gt_u32_e32 vcc, 8, v9
	v_subrev_u32_e32 v9, 28, v0
	v_cndmask_b32_e32 v9, 0, v9, vcc
	v_lshlrev_b64 v[23:24], v9, v[40:41]
	v_sub_u32_e32 v0, 29, v0
	v_cndmask_b32_e32 v0, v11, v0, vcc
	v_lshlrev_b32_e32 v9, 20, v23
	v_lshlrev_b32_e32 v11, 24, v40
	v_and_b32_e32 v9, 0x700000, v9
	v_and_b32_e32 v11, 0x80000000, v11
	v_lshl_add_u32 v0, v0, 23, v7
	v_or3_b32 v0, v11, v0, v9
.LBB2_758:                              ;   in Loop: Header=BB2_738 Depth=2
	s_or_b64 exec, exec, s[72:73]
.LBB2_759:                              ;   in Loop: Header=BB2_738 Depth=2
	s_or_b64 exec, exec, s[62:63]
.LBB2_760:                              ;   in Loop: Header=BB2_738 Depth=2
	s_or_b64 exec, exec, s[16:17]
	v_mul_f32_e32 v11, v62, v0
	v_and_b32_e32 v23, 0x7f800000, v11
	v_mov_b32_e32 v24, v41
	v_cmp_ne_u64_e32 vcc, s[46:47], v[23:24]
                                        ; implicit-def: $vgpr9
	s_and_saveexec_b64 s[16:17], vcc
	s_xor_b64 s[62:63], exec, s[16:17]
	s_cbranch_execz .LBB2_774
; %bb.761:                              ;   in Loop: Header=BB2_738 Depth=2
	v_and_b32_e32 v23, 0x7fffffff, v11
	v_mov_b32_e32 v24, v41
	v_cmp_gt_u64_e32 vcc, s[56:57], v[23:24]
	v_and_b32_sdwa v0, v11, s36 dst_sel:DWORD dst_unused:UNUSED_PAD src0_sel:BYTE_3 src1_sel:DWORD
                                        ; implicit-def: $vgpr9
	s_and_saveexec_b64 s[16:17], vcc
	s_xor_b64 s[72:73], exec, s[16:17]
	s_cbranch_execz .LBB2_771
; %bb.762:                              ;   in Loop: Header=BB2_738 Depth=2
	v_mov_b32_e32 v9, 0
	v_cmp_ne_u32_e32 vcc, 0, v11
	s_and_saveexec_b64 s[74:75], vcc
	s_cbranch_execz .LBB2_770
; %bb.763:                              ;   in Loop: Header=BB2_738 Depth=2
	v_bfe_u32 v9, v11, 23, 8
	v_and_b32_e32 v23, 0x7fffff, v11
	v_cmp_gt_u32_e64 s[16:17], s38, v9
	v_sub_u32_e32 v11, 0x79, v9
	v_cmp_eq_u32_e32 vcc, 0, v9
	v_cndmask_b32_e64 v11, 0, v11, s[16:17]
	v_cndmask_b32_e32 v11, v11, v8, vcc
	v_add_u32_e32 v27, 20, v11
	v_or_b32_e32 v24, 0x800000, v23
	v_lshlrev_b64 v[27:28], v27, -1
	v_add_u32_e32 v29, 19, v11
	v_cndmask_b32_e32 v23, v24, v23, vcc
	v_lshlrev_b64 v[29:30], v29, 1
	v_mov_b32_e32 v24, v41
	v_bfi_b32 v28, v28, 0, 0
	v_bfi_b32 v27, v27, 0, v23
	v_cmp_eq_u64_e64 s[16:17], v[27:28], v[29:30]
	v_lshrrev_b64 v[27:28], v11, v[23:24]
	v_mov_b32_e32 v29, v28
	v_mov_b32_e32 v28, v27
	s_and_saveexec_b64 s[76:77], s[16:17]
; %bb.764:                              ;   in Loop: Header=BB2_738 Depth=2
	v_bfe_u32 v23, v27, 20, 1
	v_add_co_u32_e64 v23, s[16:17], v27, v23
	v_add_co_u32_e64 v28, s[16:17], -1, v23
; %bb.765:                              ;   in Loop: Header=BB2_738 Depth=2
	s_or_b64 exec, exec, s[76:77]
	v_add_u32_e32 v9, 0xffffff81, v9
	v_cndmask_b32_e32 v9, v9, v54, vcc
	v_lshrrev_b32_e32 v23, 23, v27
	v_add3_u32 v23, v11, v9, v23
	v_add_u32_e32 v11, 6, v23
	v_and_b32_e32 v9, 0xfffff, v28
	v_add_u32_e32 v27, v9, v27
	v_mov_b32_e32 v28, v41
	v_cmp_ne_u32_e32 vcc, 0, v11
                                        ; implicit-def: $vgpr9
	s_and_saveexec_b64 s[16:17], vcc
	s_xor_b64 s[16:17], exec, s[16:17]
; %bb.766:                              ;   in Loop: Header=BB2_738 Depth=2
	v_cmp_lt_u64_e32 vcc, s[58:59], v[27:28]
	v_add_u32_e32 v9, 7, v23
	v_cndmask_b32_e32 v9, v11, v9, vcc
	v_cndmask_b32_e64 v11, 0, 1, vcc
	v_lshrrev_b64 v[27:28], v11, v[27:28]
; %bb.767:                              ;   in Loop: Header=BB2_738 Depth=2
	s_andn2_saveexec_b64 s[16:17], s[16:17]
; %bb.768:                              ;   in Loop: Header=BB2_738 Depth=2
	v_bfe_u32 v9, v27, 23, 1
; %bb.769:                              ;   in Loop: Header=BB2_738 Depth=2
	s_or_b64 exec, exec, s[16:17]
	v_lshrrev_b64 v[23:24], 20, v[27:28]
	v_cmp_gt_i32_e32 vcc, 16, v9
	v_cndmask_b32_e32 v24, 0, v24, vcc
	v_cndmask_b32_e32 v23, 7, v23, vcc
	v_cmp_eq_u32_e32 vcc, 0, v9
	v_min_i32_e32 v9, 15, v9
	v_cmp_eq_u64_e64 s[16:17], 0, v[23:24]
	v_lshlrev_b32_e32 v9, 3, v9
	v_and_b32_e32 v9, 0xf8, v9
	v_and_or_b32 v9, v23, 7, v9
	s_and_b64 s[16:17], vcc, s[16:17]
	v_cndmask_b32_e64 v9, v9, 0, s[16:17]
	v_or_b32_e32 v9, v9, v0
.LBB2_770:                              ;   in Loop: Header=BB2_738 Depth=2
	s_or_b64 exec, exec, s[74:75]
                                        ; implicit-def: $vgpr0
.LBB2_771:                              ;   in Loop: Header=BB2_738 Depth=2
	s_andn2_saveexec_b64 s[16:17], s[72:73]
; %bb.772:                              ;   in Loop: Header=BB2_738 Depth=2
	v_or_b32_e32 v9, 0x7e, v0
; %bb.773:                              ;   in Loop: Header=BB2_738 Depth=2
	s_or_b64 exec, exec, s[16:17]
                                        ; implicit-def: $vgpr11
.LBB2_774:                              ;   in Loop: Header=BB2_738 Depth=2
	s_andn2_saveexec_b64 s[16:17], s[62:63]
; %bb.775:                              ;   in Loop: Header=BB2_738 Depth=2
	v_or_b32_sdwa v9, v11, s37 dst_sel:DWORD dst_unused:UNUSED_PAD src0_sel:BYTE_3 src1_sel:DWORD
; %bb.776:                              ;   in Loop: Header=BB2_738 Depth=2
	s_or_b64 exec, exec, s[16:17]
	v_lshrrev_b16_e32 v0, 8, v40
	v_cmp_ne_u16_e32 vcc, 0, v0
	v_mov_b32_e32 v11, 0
	s_and_saveexec_b64 s[16:17], vcc
	s_cbranch_execz .LBB2_782
; %bb.777:                              ;   in Loop: Header=BB2_738 Depth=2
	v_cmp_ne_u16_e32 vcc, s36, v0
	v_bfrev_b32_e32 v11, 1
	s_and_saveexec_b64 s[62:63], vcc
	s_cbranch_execz .LBB2_781
; %bb.778:                              ;   in Loop: Header=BB2_738 Depth=2
	v_and_b32_e32 v23, 0x7f, v0
	v_cmp_ne_u32_e32 vcc, s37, v23
	v_mov_b32_e32 v11, 0x7f800001
	s_and_saveexec_b64 s[72:73], vcc
	s_cbranch_execz .LBB2_780
; %bb.779:                              ;   in Loop: Header=BB2_738 Depth=2
	v_and_b32_e32 v11, 7, v0
	v_lshrrev_b32_e32 v27, 3, v23
	v_cmp_gt_u32_e32 vcc, 8, v23
	v_ffbh_u32_e32 v23, v11
	v_min_u32_e32 v28, 32, v23
	v_subrev_u32_e32 v23, 28, v28
	v_lshlrev_b64 v[23:24], v23, v[0:1]
	v_sub_u32_e32 v0, 29, v28
	v_and_b32_e32 v23, 7, v23
	v_cndmask_b32_e32 v0, v27, v0, vcc
	v_cndmask_b32_e32 v11, v11, v23, vcc
	v_lshlrev_b32_e32 v23, 16, v40
	v_lshlrev_b32_e32 v11, 20, v11
	v_and_b32_e32 v23, 0x80000000, v23
	v_lshl_add_u32 v0, v0, 23, v7
	v_or3_b32 v11, v23, v0, v11
.LBB2_780:                              ;   in Loop: Header=BB2_738 Depth=2
	s_or_b64 exec, exec, s[72:73]
.LBB2_781:                              ;   in Loop: Header=BB2_738 Depth=2
	s_or_b64 exec, exec, s[62:63]
.LBB2_782:                              ;   in Loop: Header=BB2_738 Depth=2
	s_or_b64 exec, exec, s[16:17]
	v_mul_f32_e32 v27, v62, v11
	v_and_b32_e32 v23, 0x7f800000, v27
	v_mov_b32_e32 v24, v41
	v_cmp_ne_u64_e32 vcc, s[46:47], v[23:24]
                                        ; implicit-def: $vgpr11
	s_and_saveexec_b64 s[16:17], vcc
	s_xor_b64 s[62:63], exec, s[16:17]
	s_cbranch_execz .LBB2_796
; %bb.783:                              ;   in Loop: Header=BB2_738 Depth=2
	v_and_b32_e32 v23, 0x7fffffff, v27
	v_mov_b32_e32 v24, v41
	v_cmp_gt_u64_e32 vcc, s[56:57], v[23:24]
	v_and_b32_sdwa v0, v27, s36 dst_sel:DWORD dst_unused:UNUSED_PAD src0_sel:BYTE_3 src1_sel:DWORD
                                        ; implicit-def: $vgpr11
	s_and_saveexec_b64 s[16:17], vcc
	s_xor_b64 s[72:73], exec, s[16:17]
	s_cbranch_execz .LBB2_793
; %bb.784:                              ;   in Loop: Header=BB2_738 Depth=2
	v_mov_b32_e32 v11, 0
	v_cmp_ne_u32_e32 vcc, 0, v27
	s_and_saveexec_b64 s[74:75], vcc
	s_cbranch_execz .LBB2_792
; %bb.785:                              ;   in Loop: Header=BB2_738 Depth=2
	v_bfe_u32 v11, v27, 23, 8
	v_cmp_gt_u32_e64 s[16:17], s38, v11
	v_sub_u32_e32 v24, 0x79, v11
	v_and_b32_e32 v23, 0x7fffff, v27
	v_cmp_eq_u32_e32 vcc, 0, v11
	v_cndmask_b32_e64 v24, 0, v24, s[16:17]
	v_or_b32_e32 v27, 0x800000, v23
	v_cndmask_b32_e32 v30, v24, v8, vcc
	v_cndmask_b32_e32 v23, v27, v23, vcc
	v_add_u32_e32 v27, 20, v30
	v_lshlrev_b64 v[27:28], v27, -1
	v_add_u32_e32 v29, 19, v30
	v_lshlrev_b64 v[31:32], v29, 1
	v_mov_b32_e32 v24, v41
	v_bfi_b32 v28, v28, 0, 0
	v_bfi_b32 v27, v27, 0, v23
	v_cmp_eq_u64_e64 s[16:17], v[27:28], v[31:32]
	v_lshrrev_b64 v[27:28], v30, v[23:24]
	v_mov_b32_e32 v29, v28
	v_mov_b32_e32 v28, v27
	s_and_saveexec_b64 s[76:77], s[16:17]
; %bb.786:                              ;   in Loop: Header=BB2_738 Depth=2
	v_bfe_u32 v23, v27, 20, 1
	v_add_co_u32_e64 v23, s[16:17], v27, v23
	v_add_co_u32_e64 v28, s[16:17], -1, v23
; %bb.787:                              ;   in Loop: Header=BB2_738 Depth=2
	s_or_b64 exec, exec, s[76:77]
	v_add_u32_e32 v11, 0xffffff81, v11
	v_cndmask_b32_e32 v11, v11, v54, vcc
	v_lshrrev_b32_e32 v23, 23, v27
	v_add3_u32 v24, v30, v11, v23
	v_add_u32_e32 v23, 6, v24
	v_and_b32_e32 v11, 0xfffff, v28
	v_add_u32_e32 v27, v11, v27
	v_mov_b32_e32 v28, v41
	v_cmp_ne_u32_e32 vcc, 0, v23
                                        ; implicit-def: $vgpr11
	s_and_saveexec_b64 s[16:17], vcc
	s_xor_b64 s[16:17], exec, s[16:17]
; %bb.788:                              ;   in Loop: Header=BB2_738 Depth=2
	v_cmp_lt_u64_e32 vcc, s[58:59], v[27:28]
	v_add_u32_e32 v11, 7, v24
	v_cndmask_b32_e32 v11, v23, v11, vcc
	v_cndmask_b32_e64 v23, 0, 1, vcc
	v_lshrrev_b64 v[27:28], v23, v[27:28]
; %bb.789:                              ;   in Loop: Header=BB2_738 Depth=2
	s_andn2_saveexec_b64 s[16:17], s[16:17]
; %bb.790:                              ;   in Loop: Header=BB2_738 Depth=2
	v_bfe_u32 v11, v27, 23, 1
; %bb.791:                              ;   in Loop: Header=BB2_738 Depth=2
	s_or_b64 exec, exec, s[16:17]
	v_lshrrev_b64 v[23:24], 20, v[27:28]
	v_cmp_gt_i32_e32 vcc, 16, v11
	v_cndmask_b32_e32 v24, 0, v24, vcc
	v_cndmask_b32_e32 v23, 7, v23, vcc
	v_cmp_eq_u32_e32 vcc, 0, v11
	v_min_i32_e32 v11, 15, v11
	v_cmp_eq_u64_e64 s[16:17], 0, v[23:24]
	v_lshlrev_b32_e32 v11, 3, v11
	v_and_b32_e32 v11, 0xf8, v11
	v_and_or_b32 v11, v23, 7, v11
	s_and_b64 s[16:17], vcc, s[16:17]
	v_cndmask_b32_e64 v11, v11, 0, s[16:17]
	v_or_b32_e32 v11, v11, v0
.LBB2_792:                              ;   in Loop: Header=BB2_738 Depth=2
	s_or_b64 exec, exec, s[74:75]
                                        ; implicit-def: $vgpr0
.LBB2_793:                              ;   in Loop: Header=BB2_738 Depth=2
	s_andn2_saveexec_b64 s[16:17], s[72:73]
; %bb.794:                              ;   in Loop: Header=BB2_738 Depth=2
	v_or_b32_e32 v11, 0x7e, v0
; %bb.795:                              ;   in Loop: Header=BB2_738 Depth=2
	s_or_b64 exec, exec, s[16:17]
                                        ; implicit-def: $vgpr27
.LBB2_796:                              ;   in Loop: Header=BB2_738 Depth=2
	s_andn2_saveexec_b64 s[16:17], s[62:63]
; %bb.797:                              ;   in Loop: Header=BB2_738 Depth=2
	v_or_b32_sdwa v11, v27, s37 dst_sel:DWORD dst_unused:UNUSED_PAD src0_sel:BYTE_3 src1_sel:DWORD
; %bb.798:                              ;   in Loop: Header=BB2_738 Depth=2
	s_or_b64 exec, exec, s[16:17]
	v_and_b32_sdwa v24, v40, s35 dst_sel:DWORD dst_unused:UNUSED_PAD src0_sel:WORD_1 src1_sel:DWORD
	v_lshrrev_b32_e32 v0, 16, v40
	v_cmp_ne_u16_e32 vcc, 0, v24
	v_mov_b32_e32 v23, 0
	s_and_saveexec_b64 s[16:17], vcc
	s_cbranch_execz .LBB2_804
; %bb.799:                              ;   in Loop: Header=BB2_738 Depth=2
	v_cmp_ne_u16_e32 vcc, s36, v24
	v_bfrev_b32_e32 v23, 1
	s_and_saveexec_b64 s[62:63], vcc
	s_cbranch_execz .LBB2_803
; %bb.800:                              ;   in Loop: Header=BB2_738 Depth=2
	v_bfe_u32 v24, v40, 16, 7
	v_cmp_ne_u32_e32 vcc, s37, v24
	v_mov_b32_e32 v23, 0x7f800001
	s_and_saveexec_b64 s[72:73], vcc
	s_cbranch_execz .LBB2_802
; %bb.801:                              ;   in Loop: Header=BB2_738 Depth=2
	v_and_b32_e32 v27, 7, v0
	v_ffbh_u32_e32 v23, v27
	v_min_u32_e32 v29, 32, v23
	v_subrev_u32_e32 v23, 28, v29
	v_lshrrev_b32_e32 v28, 3, v24
	v_cmp_gt_u32_e32 vcc, 8, v24
	v_lshlrev_b64 v[23:24], v23, v[0:1]
	v_sub_u32_e32 v0, 29, v29
	v_and_b32_e32 v23, 7, v23
	v_cndmask_b32_e32 v0, v28, v0, vcc
	v_cndmask_b32_e32 v23, v27, v23, vcc
	v_lshlrev_b32_sdwa v24, v55, v40 dst_sel:DWORD dst_unused:UNUSED_PAD src0_sel:DWORD src1_sel:WORD_1
	v_lshlrev_b32_e32 v23, 20, v23
	v_and_b32_e32 v24, 0x80000000, v24
	v_lshl_add_u32 v0, v0, 23, v7
	v_or3_b32 v23, v24, v0, v23
.LBB2_802:                              ;   in Loop: Header=BB2_738 Depth=2
	s_or_b64 exec, exec, s[72:73]
.LBB2_803:                              ;   in Loop: Header=BB2_738 Depth=2
	s_or_b64 exec, exec, s[62:63]
.LBB2_804:                              ;   in Loop: Header=BB2_738 Depth=2
	s_or_b64 exec, exec, s[16:17]
	v_mul_f32_e32 v27, v62, v23
	v_and_b32_e32 v23, 0x7f800000, v27
	v_mov_b32_e32 v24, v41
	v_cmp_ne_u64_e32 vcc, s[46:47], v[23:24]
                                        ; implicit-def: $vgpr31
	s_and_saveexec_b64 s[16:17], vcc
	s_xor_b64 s[62:63], exec, s[16:17]
	s_cbranch_execz .LBB2_818
; %bb.805:                              ;   in Loop: Header=BB2_738 Depth=2
	v_and_b32_e32 v23, 0x7fffffff, v27
	v_mov_b32_e32 v24, v41
	v_cmp_gt_u64_e32 vcc, s[56:57], v[23:24]
	v_and_b32_sdwa v0, v27, s36 dst_sel:DWORD dst_unused:UNUSED_PAD src0_sel:BYTE_3 src1_sel:DWORD
                                        ; implicit-def: $vgpr31
	s_and_saveexec_b64 s[16:17], vcc
	s_xor_b64 s[72:73], exec, s[16:17]
	s_cbranch_execz .LBB2_815
; %bb.806:                              ;   in Loop: Header=BB2_738 Depth=2
	v_mov_b32_e32 v31, 0
	v_cmp_ne_u32_e32 vcc, 0, v27
	s_and_saveexec_b64 s[74:75], vcc
	s_cbranch_execz .LBB2_814
; %bb.807:                              ;   in Loop: Header=BB2_738 Depth=2
	v_bfe_u32 v30, v27, 23, 8
	v_cmp_gt_u32_e64 s[16:17], s38, v30
	v_sub_u32_e32 v24, 0x79, v30
	v_and_b32_e32 v23, 0x7fffff, v27
	v_cmp_eq_u32_e32 vcc, 0, v30
	v_cndmask_b32_e64 v24, 0, v24, s[16:17]
	v_or_b32_e32 v27, 0x800000, v23
	v_cndmask_b32_e32 v31, v24, v8, vcc
	v_cndmask_b32_e32 v23, v27, v23, vcc
	v_add_u32_e32 v27, 20, v31
	v_lshlrev_b64 v[27:28], v27, -1
	v_add_u32_e32 v29, 19, v31
	v_lshlrev_b64 v[32:33], v29, 1
	v_mov_b32_e32 v24, v41
	v_bfi_b32 v28, v28, 0, 0
	v_bfi_b32 v27, v27, 0, v23
	v_cmp_eq_u64_e64 s[16:17], v[27:28], v[32:33]
	v_lshrrev_b64 v[27:28], v31, v[23:24]
	v_mov_b32_e32 v29, v28
	v_mov_b32_e32 v28, v27
	s_and_saveexec_b64 s[76:77], s[16:17]
; %bb.808:                              ;   in Loop: Header=BB2_738 Depth=2
	v_bfe_u32 v23, v27, 20, 1
	v_add_co_u32_e64 v23, s[16:17], v27, v23
	v_add_co_u32_e64 v28, s[16:17], -1, v23
; %bb.809:                              ;   in Loop: Header=BB2_738 Depth=2
	s_or_b64 exec, exec, s[76:77]
	v_add_u32_e32 v23, 0xffffff81, v30
	v_cndmask_b32_e32 v23, v23, v54, vcc
	v_lshrrev_b32_e32 v24, 23, v27
	v_add3_u32 v24, v31, v23, v24
	v_add_u32_e32 v23, 6, v24
	v_and_b32_e32 v28, 0xfffff, v28
	v_add_u32_e32 v27, v28, v27
	v_mov_b32_e32 v28, v41
	v_cmp_ne_u32_e32 vcc, 0, v23
                                        ; implicit-def: $vgpr29
	s_and_saveexec_b64 s[16:17], vcc
	s_xor_b64 s[16:17], exec, s[16:17]
; %bb.810:                              ;   in Loop: Header=BB2_738 Depth=2
	v_cmp_lt_u64_e32 vcc, s[58:59], v[27:28]
	v_add_u32_e32 v24, 7, v24
	v_cndmask_b32_e32 v29, v23, v24, vcc
	v_cndmask_b32_e64 v23, 0, 1, vcc
	v_lshrrev_b64 v[27:28], v23, v[27:28]
; %bb.811:                              ;   in Loop: Header=BB2_738 Depth=2
	s_andn2_saveexec_b64 s[16:17], s[16:17]
; %bb.812:                              ;   in Loop: Header=BB2_738 Depth=2
	v_bfe_u32 v29, v27, 23, 1
; %bb.813:                              ;   in Loop: Header=BB2_738 Depth=2
	s_or_b64 exec, exec, s[16:17]
	v_lshrrev_b64 v[23:24], 20, v[27:28]
	v_cmp_gt_i32_e32 vcc, 16, v29
	v_cndmask_b32_e32 v24, 0, v24, vcc
	v_cndmask_b32_e32 v23, 7, v23, vcc
	v_cmp_eq_u64_e64 s[16:17], 0, v[23:24]
	v_min_i32_e32 v24, 15, v29
	v_lshlrev_b32_e32 v24, 3, v24
	v_cmp_eq_u32_e32 vcc, 0, v29
	v_and_b32_e32 v24, 0xf8, v24
	v_and_or_b32 v23, v23, 7, v24
	s_and_b64 s[16:17], vcc, s[16:17]
	v_cndmask_b32_e64 v23, v23, 0, s[16:17]
	v_or_b32_e32 v31, v23, v0
.LBB2_814:                              ;   in Loop: Header=BB2_738 Depth=2
	s_or_b64 exec, exec, s[74:75]
                                        ; implicit-def: $vgpr0
.LBB2_815:                              ;   in Loop: Header=BB2_738 Depth=2
	s_andn2_saveexec_b64 s[16:17], s[72:73]
; %bb.816:                              ;   in Loop: Header=BB2_738 Depth=2
	v_or_b32_e32 v31, 0x7e, v0
; %bb.817:                              ;   in Loop: Header=BB2_738 Depth=2
	s_or_b64 exec, exec, s[16:17]
                                        ; implicit-def: $vgpr27
.LBB2_818:                              ;   in Loop: Header=BB2_738 Depth=2
	s_andn2_saveexec_b64 s[16:17], s[62:63]
; %bb.819:                              ;   in Loop: Header=BB2_738 Depth=2
	v_or_b32_sdwa v31, v27, s37 dst_sel:DWORD dst_unused:UNUSED_PAD src0_sel:BYTE_3 src1_sel:DWORD
; %bb.820:                              ;   in Loop: Header=BB2_738 Depth=2
	s_or_b64 exec, exec, s[16:17]
	v_cmp_lt_u32_e32 vcc, s39, v40
	v_mov_b32_e32 v23, 0
	s_and_saveexec_b64 s[16:17], vcc
	s_cbranch_execz .LBB2_826
; %bb.821:                              ;   in Loop: Header=BB2_738 Depth=2
	v_lshrrev_b32_e32 v0, 24, v40
	v_cmp_ne_u32_sdwa s[72:73], v40, s36 src0_sel:BYTE_3 src1_sel:DWORD
	v_bfrev_b32_e32 v23, 1
	s_and_saveexec_b64 s[62:63], s[72:73]
	s_cbranch_execz .LBB2_825
; %bb.822:                              ;   in Loop: Header=BB2_738 Depth=2
	v_bfe_u32 v24, v40, 24, 7
	v_cmp_ne_u32_e32 vcc, s37, v24
	v_mov_b32_e32 v23, 0x7f800001
	s_and_saveexec_b64 s[72:73], vcc
	s_cbranch_execz .LBB2_824
; %bb.823:                              ;   in Loop: Header=BB2_738 Depth=2
	v_and_b32_e32 v27, 7, v0
	v_ffbh_u32_e32 v23, v27
	v_min_u32_e32 v29, 32, v23
	v_subrev_u32_e32 v23, 28, v29
	v_lshrrev_b32_e32 v28, 3, v24
	v_cmp_gt_u32_e32 vcc, 8, v24
	v_lshlrev_b64 v[23:24], v23, v[0:1]
	v_sub_u32_e32 v0, 29, v29
	v_and_b32_e32 v23, 7, v23
	v_cndmask_b32_e32 v0, v28, v0, vcc
	v_cndmask_b32_e32 v23, v27, v23, vcc
	v_lshlrev_b32_sdwa v24, v55, v40 dst_sel:DWORD dst_unused:UNUSED_PAD src0_sel:DWORD src1_sel:BYTE_3
	v_lshlrev_b32_e32 v23, 20, v23
	v_and_b32_e32 v24, 0x80000000, v24
	v_lshl_add_u32 v0, v0, 23, v7
	v_or3_b32 v23, v24, v0, v23
.LBB2_824:                              ;   in Loop: Header=BB2_738 Depth=2
	s_or_b64 exec, exec, s[72:73]
.LBB2_825:                              ;   in Loop: Header=BB2_738 Depth=2
	s_or_b64 exec, exec, s[62:63]
.LBB2_826:                              ;   in Loop: Header=BB2_738 Depth=2
	s_or_b64 exec, exec, s[16:17]
	v_mul_f32_e32 v27, v62, v23
	v_and_b32_e32 v40, 0x7f800000, v27
	v_cmp_ne_u64_e32 vcc, s[46:47], v[40:41]
                                        ; implicit-def: $vgpr33
	s_and_saveexec_b64 s[16:17], vcc
	s_xor_b64 s[62:63], exec, s[16:17]
	s_cbranch_execz .LBB2_840
; %bb.827:                              ;   in Loop: Header=BB2_738 Depth=2
	v_and_b32_e32 v40, 0x7fffffff, v27
	v_cmp_gt_u64_e32 vcc, s[56:57], v[40:41]
	v_and_b32_sdwa v0, v27, s36 dst_sel:DWORD dst_unused:UNUSED_PAD src0_sel:BYTE_3 src1_sel:DWORD
                                        ; implicit-def: $vgpr33
	s_and_saveexec_b64 s[16:17], vcc
	s_xor_b64 s[72:73], exec, s[16:17]
	s_cbranch_execz .LBB2_837
; %bb.828:                              ;   in Loop: Header=BB2_738 Depth=2
	v_mov_b32_e32 v33, 0
	v_cmp_ne_u32_e32 vcc, 0, v27
	s_and_saveexec_b64 s[74:75], vcc
	s_cbranch_execz .LBB2_836
; %bb.829:                              ;   in Loop: Header=BB2_738 Depth=2
	v_bfe_u32 v30, v27, 23, 8
	v_cmp_gt_u32_e64 s[16:17], s38, v30
	v_sub_u32_e32 v24, 0x79, v30
	v_and_b32_e32 v23, 0x7fffff, v27
	v_cmp_eq_u32_e32 vcc, 0, v30
	v_cndmask_b32_e64 v24, 0, v24, s[16:17]
	v_or_b32_e32 v27, 0x800000, v23
	v_cndmask_b32_e32 v32, v24, v8, vcc
	v_cndmask_b32_e32 v40, v27, v23, vcc
	v_add_u32_e32 v23, 20, v32
	v_lshlrev_b64 v[23:24], v23, -1
	v_add_u32_e32 v27, 19, v32
	v_lshlrev_b64 v[27:28], v27, 1
	v_bfi_b32 v24, v24, 0, 0
	v_bfi_b32 v23, v23, 0, v40
	v_cmp_eq_u64_e64 s[16:17], v[23:24], v[27:28]
	v_lshrrev_b64 v[27:28], v32, v[40:41]
	v_mov_b32_e32 v29, v28
	v_mov_b32_e32 v28, v27
	s_and_saveexec_b64 s[76:77], s[16:17]
; %bb.830:                              ;   in Loop: Header=BB2_738 Depth=2
	v_bfe_u32 v23, v27, 20, 1
	v_add_co_u32_e64 v23, s[16:17], v27, v23
	v_add_co_u32_e64 v28, s[16:17], -1, v23
; %bb.831:                              ;   in Loop: Header=BB2_738 Depth=2
	s_or_b64 exec, exec, s[76:77]
	v_add_u32_e32 v23, 0xffffff81, v30
	v_cndmask_b32_e32 v23, v23, v54, vcc
	v_lshrrev_b32_e32 v24, 23, v27
	v_add3_u32 v24, v32, v23, v24
	v_add_u32_e32 v23, 6, v24
	v_and_b32_e32 v28, 0xfffff, v28
	v_add_u32_e32 v40, v28, v27
	v_cmp_ne_u32_e32 vcc, 0, v23
                                        ; implicit-def: $vgpr27_vgpr28
                                        ; implicit-def: $vgpr29
	s_and_saveexec_b64 s[16:17], vcc
	s_xor_b64 s[16:17], exec, s[16:17]
; %bb.832:                              ;   in Loop: Header=BB2_738 Depth=2
	v_cmp_lt_u64_e32 vcc, s[58:59], v[40:41]
	v_add_u32_e32 v24, 7, v24
	v_cndmask_b32_e32 v29, v23, v24, vcc
	v_cndmask_b32_e64 v23, 0, 1, vcc
	v_lshrrev_b64 v[27:28], v23, v[40:41]
; %bb.833:                              ;   in Loop: Header=BB2_738 Depth=2
	s_andn2_saveexec_b64 s[16:17], s[16:17]
; %bb.834:                              ;   in Loop: Header=BB2_738 Depth=2
	v_mov_b32_e32 v27, v40
	v_bfe_u32 v29, v40, 23, 1
	v_mov_b32_e32 v28, v41
; %bb.835:                              ;   in Loop: Header=BB2_738 Depth=2
	s_or_b64 exec, exec, s[16:17]
	v_lshrrev_b64 v[23:24], 20, v[27:28]
	v_cmp_gt_i32_e32 vcc, 16, v29
	v_cndmask_b32_e32 v24, 0, v24, vcc
	v_cndmask_b32_e32 v23, 7, v23, vcc
	v_cmp_eq_u64_e64 s[16:17], 0, v[23:24]
	v_min_i32_e32 v24, 15, v29
	v_lshlrev_b32_e32 v24, 3, v24
	v_cmp_eq_u32_e32 vcc, 0, v29
	v_and_b32_e32 v24, 0xf8, v24
	v_and_or_b32 v23, v23, 7, v24
	s_and_b64 s[16:17], vcc, s[16:17]
	v_cndmask_b32_e64 v23, v23, 0, s[16:17]
	v_or_b32_e32 v33, v23, v0
.LBB2_836:                              ;   in Loop: Header=BB2_738 Depth=2
	s_or_b64 exec, exec, s[74:75]
                                        ; implicit-def: $vgpr0
.LBB2_837:                              ;   in Loop: Header=BB2_738 Depth=2
	s_andn2_saveexec_b64 s[16:17], s[72:73]
; %bb.838:                              ;   in Loop: Header=BB2_738 Depth=2
	v_or_b32_e32 v33, 0x7e, v0
; %bb.839:                              ;   in Loop: Header=BB2_738 Depth=2
	s_or_b64 exec, exec, s[16:17]
                                        ; implicit-def: $vgpr27
.LBB2_840:                              ;   in Loop: Header=BB2_738 Depth=2
	s_andn2_saveexec_b64 s[16:17], s[62:63]
; %bb.841:                              ;   in Loop: Header=BB2_738 Depth=2
	v_or_b32_sdwa v33, v27, s37 dst_sel:DWORD dst_unused:UNUSED_PAD src0_sel:BYTE_3 src1_sel:DWORD
; %bb.842:                              ;   in Loop: Header=BB2_738 Depth=2
	s_or_b64 exec, exec, s[16:17]
	v_alignbit_b32 v40, v10, v26, v4
	v_cmp_ne_u16_sdwa s[62:63], v40, v41 src0_sel:BYTE_0 src1_sel:DWORD
	v_mov_b32_e32 v0, 0
	s_and_saveexec_b64 s[16:17], s[62:63]
	s_cbranch_execz .LBB2_848
; %bb.843:                              ;   in Loop: Header=BB2_738 Depth=2
	v_cmp_ne_u16_sdwa s[72:73], v40, s36 src0_sel:BYTE_0 src1_sel:DWORD
	v_bfrev_b32_e32 v0, 1
	s_and_saveexec_b64 s[62:63], s[72:73]
	s_cbranch_execz .LBB2_847
; %bb.844:                              ;   in Loop: Header=BB2_738 Depth=2
	v_and_b32_e32 v4, 0x7f, v40
	v_cmp_ne_u32_e32 vcc, s37, v4
	v_mov_b32_e32 v0, 0x7f800001
	s_and_saveexec_b64 s[72:73], vcc
	s_cbranch_execz .LBB2_846
; %bb.845:                              ;   in Loop: Header=BB2_738 Depth=2
	v_and_b32_e32 v0, 7, v40
	v_ffbh_u32_e32 v0, v0
	v_min_u32_e32 v0, 32, v0
	v_lshrrev_b32_e32 v10, 3, v4
	v_cmp_gt_u32_e32 vcc, 8, v4
	v_subrev_u32_e32 v4, 28, v0
	v_cndmask_b32_e32 v4, 0, v4, vcc
	v_lshlrev_b64 v[23:24], v4, v[40:41]
	v_sub_u32_e32 v0, 29, v0
	v_cndmask_b32_e32 v0, v10, v0, vcc
	v_lshlrev_b32_e32 v4, 20, v23
	v_lshlrev_b32_e32 v10, 24, v40
	v_and_b32_e32 v4, 0x700000, v4
	v_and_b32_e32 v10, 0x80000000, v10
	v_lshl_add_u32 v0, v0, 23, v7
	v_or3_b32 v0, v10, v0, v4
.LBB2_846:                              ;   in Loop: Header=BB2_738 Depth=2
	s_or_b64 exec, exec, s[72:73]
.LBB2_847:                              ;   in Loop: Header=BB2_738 Depth=2
	s_or_b64 exec, exec, s[62:63]
.LBB2_848:                              ;   in Loop: Header=BB2_738 Depth=2
	s_or_b64 exec, exec, s[16:17]
	v_mul_f32_e32 v4, v62, v0
	v_and_b32_e32 v23, 0x7f800000, v4
	v_mov_b32_e32 v24, v41
	v_cmp_ne_u64_e32 vcc, s[46:47], v[23:24]
                                        ; implicit-def: $vgpr10
	s_and_saveexec_b64 s[16:17], vcc
	s_xor_b64 s[62:63], exec, s[16:17]
	s_cbranch_execz .LBB2_862
; %bb.849:                              ;   in Loop: Header=BB2_738 Depth=2
	v_and_b32_e32 v23, 0x7fffffff, v4
	v_mov_b32_e32 v24, v41
	v_cmp_gt_u64_e32 vcc, s[56:57], v[23:24]
	v_and_b32_sdwa v0, v4, s36 dst_sel:DWORD dst_unused:UNUSED_PAD src0_sel:BYTE_3 src1_sel:DWORD
                                        ; implicit-def: $vgpr10
	s_and_saveexec_b64 s[16:17], vcc
	s_xor_b64 s[72:73], exec, s[16:17]
	s_cbranch_execz .LBB2_859
; %bb.850:                              ;   in Loop: Header=BB2_738 Depth=2
	v_mov_b32_e32 v10, 0
	v_cmp_ne_u32_e32 vcc, 0, v4
	s_and_saveexec_b64 s[74:75], vcc
	s_cbranch_execz .LBB2_858
; %bb.851:                              ;   in Loop: Header=BB2_738 Depth=2
	v_and_b32_e32 v23, 0x7fffff, v4
	v_bfe_u32 v4, v4, 23, 8
	v_cmp_gt_u32_e64 s[16:17], s38, v4
	v_sub_u32_e32 v10, 0x79, v4
	v_cmp_eq_u32_e32 vcc, 0, v4
	v_cndmask_b32_e64 v10, 0, v10, s[16:17]
	v_cndmask_b32_e32 v10, v10, v8, vcc
	v_add_u32_e32 v26, 20, v10
	v_or_b32_e32 v24, 0x800000, v23
	v_lshlrev_b64 v[26:27], v26, -1
	v_add_u32_e32 v28, 19, v10
	v_cndmask_b32_e32 v23, v24, v23, vcc
	v_lshlrev_b64 v[28:29], v28, 1
	v_mov_b32_e32 v24, v41
	v_bfi_b32 v27, v27, 0, 0
	v_bfi_b32 v26, v26, 0, v23
	v_cmp_eq_u64_e64 s[16:17], v[26:27], v[28:29]
	v_lshrrev_b64 v[27:28], v10, v[23:24]
	v_mov_b32_e32 v29, v28
	v_mov_b32_e32 v28, v27
	s_and_saveexec_b64 s[76:77], s[16:17]
; %bb.852:                              ;   in Loop: Header=BB2_738 Depth=2
	v_bfe_u32 v23, v27, 20, 1
	v_add_co_u32_e64 v23, s[16:17], v27, v23
	v_add_co_u32_e64 v28, s[16:17], -1, v23
; %bb.853:                              ;   in Loop: Header=BB2_738 Depth=2
	s_or_b64 exec, exec, s[76:77]
	v_add_u32_e32 v4, 0xffffff81, v4
	v_cndmask_b32_e32 v4, v4, v54, vcc
	v_lshrrev_b32_e32 v23, 23, v27
	v_add3_u32 v23, v10, v4, v23
	v_add_u32_e32 v10, 6, v23
	v_and_b32_e32 v4, 0xfffff, v28
	v_add_u32_e32 v27, v4, v27
	v_mov_b32_e32 v28, v41
	v_cmp_ne_u32_e32 vcc, 0, v10
                                        ; implicit-def: $vgpr4
	s_and_saveexec_b64 s[16:17], vcc
	s_xor_b64 s[16:17], exec, s[16:17]
; %bb.854:                              ;   in Loop: Header=BB2_738 Depth=2
	v_cmp_lt_u64_e32 vcc, s[58:59], v[27:28]
	v_add_u32_e32 v4, 7, v23
	v_cndmask_b32_e32 v4, v10, v4, vcc
	v_cndmask_b32_e64 v10, 0, 1, vcc
	v_lshrrev_b64 v[27:28], v10, v[27:28]
; %bb.855:                              ;   in Loop: Header=BB2_738 Depth=2
	s_andn2_saveexec_b64 s[16:17], s[16:17]
; %bb.856:                              ;   in Loop: Header=BB2_738 Depth=2
	v_bfe_u32 v4, v27, 23, 1
; %bb.857:                              ;   in Loop: Header=BB2_738 Depth=2
	s_or_b64 exec, exec, s[16:17]
	v_lshrrev_b64 v[23:24], 20, v[27:28]
	v_cmp_gt_i32_e32 vcc, 16, v4
	v_cndmask_b32_e32 v24, 0, v24, vcc
	v_cndmask_b32_e32 v23, 7, v23, vcc
	v_cmp_eq_u32_e32 vcc, 0, v4
	v_min_i32_e32 v4, 15, v4
	v_cmp_eq_u64_e64 s[16:17], 0, v[23:24]
	v_lshlrev_b32_e32 v4, 3, v4
	v_and_b32_e32 v4, 0xf8, v4
	v_and_or_b32 v4, v23, 7, v4
	s_and_b64 s[16:17], vcc, s[16:17]
	v_cndmask_b32_e64 v4, v4, 0, s[16:17]
	v_or_b32_e32 v10, v4, v0
.LBB2_858:                              ;   in Loop: Header=BB2_738 Depth=2
	s_or_b64 exec, exec, s[74:75]
                                        ; implicit-def: $vgpr0
.LBB2_859:                              ;   in Loop: Header=BB2_738 Depth=2
	s_andn2_saveexec_b64 s[16:17], s[72:73]
; %bb.860:                              ;   in Loop: Header=BB2_738 Depth=2
	v_or_b32_e32 v10, 0x7e, v0
; %bb.861:                              ;   in Loop: Header=BB2_738 Depth=2
	s_or_b64 exec, exec, s[16:17]
                                        ; implicit-def: $vgpr4
.LBB2_862:                              ;   in Loop: Header=BB2_738 Depth=2
	s_andn2_saveexec_b64 s[16:17], s[62:63]
; %bb.863:                              ;   in Loop: Header=BB2_738 Depth=2
	v_or_b32_sdwa v10, v4, s37 dst_sel:DWORD dst_unused:UNUSED_PAD src0_sel:BYTE_3 src1_sel:DWORD
; %bb.864:                              ;   in Loop: Header=BB2_738 Depth=2
	s_or_b64 exec, exec, s[16:17]
	v_lshrrev_b16_e32 v0, 8, v40
	v_cmp_ne_u16_e32 vcc, 0, v0
	v_mov_b32_e32 v4, 0
	s_and_saveexec_b64 s[16:17], vcc
	s_cbranch_execz .LBB2_870
; %bb.865:                              ;   in Loop: Header=BB2_738 Depth=2
	v_cmp_ne_u16_e32 vcc, s36, v0
	v_bfrev_b32_e32 v4, 1
	s_and_saveexec_b64 s[62:63], vcc
	s_cbranch_execz .LBB2_869
; %bb.866:                              ;   in Loop: Header=BB2_738 Depth=2
	v_and_b32_e32 v23, 0x7f, v0
	v_cmp_ne_u32_e32 vcc, s37, v23
	v_mov_b32_e32 v4, 0x7f800001
	s_and_saveexec_b64 s[72:73], vcc
	s_cbranch_execz .LBB2_868
; %bb.867:                              ;   in Loop: Header=BB2_738 Depth=2
	v_and_b32_e32 v4, 7, v0
	v_lshrrev_b32_e32 v26, 3, v23
	v_cmp_gt_u32_e32 vcc, 8, v23
	v_ffbh_u32_e32 v23, v4
	v_min_u32_e32 v27, 32, v23
	v_subrev_u32_e32 v23, 28, v27
	v_lshlrev_b64 v[23:24], v23, v[0:1]
	v_sub_u32_e32 v0, 29, v27
	v_and_b32_e32 v23, 7, v23
	v_cndmask_b32_e32 v0, v26, v0, vcc
	v_cndmask_b32_e32 v4, v4, v23, vcc
	v_lshlrev_b32_e32 v23, 16, v40
	v_lshlrev_b32_e32 v4, 20, v4
	v_and_b32_e32 v23, 0x80000000, v23
	v_lshl_add_u32 v0, v0, 23, v7
	v_or3_b32 v4, v23, v0, v4
.LBB2_868:                              ;   in Loop: Header=BB2_738 Depth=2
	s_or_b64 exec, exec, s[72:73]
.LBB2_869:                              ;   in Loop: Header=BB2_738 Depth=2
	s_or_b64 exec, exec, s[62:63]
.LBB2_870:                              ;   in Loop: Header=BB2_738 Depth=2
	s_or_b64 exec, exec, s[16:17]
	v_mul_f32_e32 v4, v62, v4
	v_and_b32_e32 v23, 0x7f800000, v4
	v_mov_b32_e32 v24, v41
	v_cmp_ne_u64_e32 vcc, s[46:47], v[23:24]
                                        ; implicit-def: $vgpr26
	s_and_saveexec_b64 s[16:17], vcc
	s_xor_b64 s[62:63], exec, s[16:17]
	s_cbranch_execz .LBB2_884
; %bb.871:                              ;   in Loop: Header=BB2_738 Depth=2
	v_and_b32_e32 v23, 0x7fffffff, v4
	v_mov_b32_e32 v24, v41
	v_cmp_gt_u64_e32 vcc, s[56:57], v[23:24]
	v_and_b32_sdwa v0, v4, s36 dst_sel:DWORD dst_unused:UNUSED_PAD src0_sel:BYTE_3 src1_sel:DWORD
                                        ; implicit-def: $vgpr26
	s_and_saveexec_b64 s[16:17], vcc
	s_xor_b64 s[72:73], exec, s[16:17]
	s_cbranch_execz .LBB2_881
; %bb.872:                              ;   in Loop: Header=BB2_738 Depth=2
	v_mov_b32_e32 v26, 0
	v_cmp_ne_u32_e32 vcc, 0, v4
	s_and_saveexec_b64 s[74:75], vcc
	s_cbranch_execz .LBB2_880
; %bb.873:                              ;   in Loop: Header=BB2_738 Depth=2
	v_and_b32_e32 v23, 0x7fffff, v4
	v_bfe_u32 v4, v4, 23, 8
	v_cmp_gt_u32_e64 s[16:17], s38, v4
	v_sub_u32_e32 v24, 0x79, v4
	v_cmp_eq_u32_e32 vcc, 0, v4
	v_cndmask_b32_e64 v24, 0, v24, s[16:17]
	v_or_b32_e32 v27, 0x800000, v23
	v_cndmask_b32_e32 v26, v24, v8, vcc
	v_cndmask_b32_e32 v23, v27, v23, vcc
	v_add_u32_e32 v27, 20, v26
	v_lshlrev_b64 v[27:28], v27, -1
	v_add_u32_e32 v29, 19, v26
	v_lshlrev_b64 v[29:30], v29, 1
	v_mov_b32_e32 v24, v41
	v_bfi_b32 v28, v28, 0, 0
	v_bfi_b32 v27, v27, 0, v23
	v_cmp_eq_u64_e64 s[16:17], v[27:28], v[29:30]
	v_lshrrev_b64 v[27:28], v26, v[23:24]
	v_mov_b32_e32 v29, v28
	v_mov_b32_e32 v28, v27
	s_and_saveexec_b64 s[76:77], s[16:17]
; %bb.874:                              ;   in Loop: Header=BB2_738 Depth=2
	v_bfe_u32 v23, v27, 20, 1
	v_add_co_u32_e64 v23, s[16:17], v27, v23
	v_add_co_u32_e64 v28, s[16:17], -1, v23
; %bb.875:                              ;   in Loop: Header=BB2_738 Depth=2
	s_or_b64 exec, exec, s[76:77]
	v_add_u32_e32 v4, 0xffffff81, v4
	v_cndmask_b32_e32 v4, v4, v54, vcc
	v_lshrrev_b32_e32 v23, 23, v27
	v_add3_u32 v24, v26, v4, v23
	v_add_u32_e32 v23, 6, v24
	v_and_b32_e32 v4, 0xfffff, v28
	v_add_u32_e32 v27, v4, v27
	v_mov_b32_e32 v28, v41
	v_cmp_ne_u32_e32 vcc, 0, v23
                                        ; implicit-def: $vgpr4
	s_and_saveexec_b64 s[16:17], vcc
	s_xor_b64 s[16:17], exec, s[16:17]
; %bb.876:                              ;   in Loop: Header=BB2_738 Depth=2
	v_cmp_lt_u64_e32 vcc, s[58:59], v[27:28]
	v_add_u32_e32 v4, 7, v24
	v_cndmask_b32_e32 v4, v23, v4, vcc
	v_cndmask_b32_e64 v23, 0, 1, vcc
	v_lshrrev_b64 v[27:28], v23, v[27:28]
; %bb.877:                              ;   in Loop: Header=BB2_738 Depth=2
	s_andn2_saveexec_b64 s[16:17], s[16:17]
; %bb.878:                              ;   in Loop: Header=BB2_738 Depth=2
	v_bfe_u32 v4, v27, 23, 1
; %bb.879:                              ;   in Loop: Header=BB2_738 Depth=2
	s_or_b64 exec, exec, s[16:17]
	v_lshrrev_b64 v[23:24], 20, v[27:28]
	v_cmp_gt_i32_e32 vcc, 16, v4
	v_cndmask_b32_e32 v24, 0, v24, vcc
	v_cndmask_b32_e32 v23, 7, v23, vcc
	v_cmp_eq_u32_e32 vcc, 0, v4
	v_min_i32_e32 v4, 15, v4
	v_cmp_eq_u64_e64 s[16:17], 0, v[23:24]
	v_lshlrev_b32_e32 v4, 3, v4
	v_and_b32_e32 v4, 0xf8, v4
	v_and_or_b32 v4, v23, 7, v4
	s_and_b64 s[16:17], vcc, s[16:17]
	v_cndmask_b32_e64 v4, v4, 0, s[16:17]
	v_or_b32_e32 v26, v4, v0
.LBB2_880:                              ;   in Loop: Header=BB2_738 Depth=2
	s_or_b64 exec, exec, s[74:75]
                                        ; implicit-def: $vgpr0
.LBB2_881:                              ;   in Loop: Header=BB2_738 Depth=2
	s_andn2_saveexec_b64 s[16:17], s[72:73]
; %bb.882:                              ;   in Loop: Header=BB2_738 Depth=2
	v_or_b32_e32 v26, 0x7e, v0
; %bb.883:                              ;   in Loop: Header=BB2_738 Depth=2
	s_or_b64 exec, exec, s[16:17]
                                        ; implicit-def: $vgpr4
.LBB2_884:                              ;   in Loop: Header=BB2_738 Depth=2
	s_andn2_saveexec_b64 s[16:17], s[62:63]
; %bb.885:                              ;   in Loop: Header=BB2_738 Depth=2
	v_or_b32_sdwa v26, v4, s37 dst_sel:DWORD dst_unused:UNUSED_PAD src0_sel:BYTE_3 src1_sel:DWORD
; %bb.886:                              ;   in Loop: Header=BB2_738 Depth=2
	s_or_b64 exec, exec, s[16:17]
	v_and_b32_sdwa v23, v40, s35 dst_sel:DWORD dst_unused:UNUSED_PAD src0_sel:WORD_1 src1_sel:DWORD
	v_lshrrev_b32_e32 v0, 16, v40
	v_cmp_ne_u16_e32 vcc, 0, v23
	v_mov_b32_e32 v4, 0
	s_and_saveexec_b64 s[16:17], vcc
	s_cbranch_execz .LBB2_892
; %bb.887:                              ;   in Loop: Header=BB2_738 Depth=2
	v_cmp_ne_u16_e32 vcc, s36, v23
	v_bfrev_b32_e32 v4, 1
	s_and_saveexec_b64 s[62:63], vcc
	s_cbranch_execz .LBB2_891
; %bb.888:                              ;   in Loop: Header=BB2_738 Depth=2
	v_bfe_u32 v23, v40, 16, 7
	v_cmp_ne_u32_e32 vcc, s37, v23
	v_mov_b32_e32 v4, 0x7f800001
	s_and_saveexec_b64 s[72:73], vcc
	s_cbranch_execz .LBB2_890
; %bb.889:                              ;   in Loop: Header=BB2_738 Depth=2
	v_and_b32_e32 v4, 7, v0
	v_lshrrev_b32_e32 v27, 3, v23
	v_cmp_gt_u32_e32 vcc, 8, v23
	v_ffbh_u32_e32 v23, v4
	v_min_u32_e32 v28, 32, v23
	v_subrev_u32_e32 v23, 28, v28
	v_lshlrev_b64 v[23:24], v23, v[0:1]
	v_sub_u32_e32 v0, 29, v28
	v_and_b32_e32 v23, 7, v23
	v_cndmask_b32_e32 v0, v27, v0, vcc
	v_cndmask_b32_e32 v4, v4, v23, vcc
	v_lshlrev_b32_sdwa v23, v55, v40 dst_sel:DWORD dst_unused:UNUSED_PAD src0_sel:DWORD src1_sel:WORD_1
	v_lshlrev_b32_e32 v4, 20, v4
	v_and_b32_e32 v23, 0x80000000, v23
	v_lshl_add_u32 v0, v0, 23, v7
	v_or3_b32 v4, v23, v0, v4
.LBB2_890:                              ;   in Loop: Header=BB2_738 Depth=2
	s_or_b64 exec, exec, s[72:73]
.LBB2_891:                              ;   in Loop: Header=BB2_738 Depth=2
	s_or_b64 exec, exec, s[62:63]
.LBB2_892:                              ;   in Loop: Header=BB2_738 Depth=2
	s_or_b64 exec, exec, s[16:17]
	v_mul_f32_e32 v4, v62, v4
	v_and_b32_e32 v23, 0x7f800000, v4
	v_mov_b32_e32 v24, v41
	v_cmp_ne_u64_e32 vcc, s[46:47], v[23:24]
                                        ; implicit-def: $vgpr30
	s_and_saveexec_b64 s[16:17], vcc
	s_xor_b64 s[62:63], exec, s[16:17]
	s_cbranch_execz .LBB2_906
; %bb.893:                              ;   in Loop: Header=BB2_738 Depth=2
	v_and_b32_e32 v23, 0x7fffffff, v4
	v_mov_b32_e32 v24, v41
	v_cmp_gt_u64_e32 vcc, s[56:57], v[23:24]
	v_and_b32_sdwa v0, v4, s36 dst_sel:DWORD dst_unused:UNUSED_PAD src0_sel:BYTE_3 src1_sel:DWORD
                                        ; implicit-def: $vgpr30
	s_and_saveexec_b64 s[16:17], vcc
	s_xor_b64 s[72:73], exec, s[16:17]
	s_cbranch_execz .LBB2_903
; %bb.894:                              ;   in Loop: Header=BB2_738 Depth=2
	v_mov_b32_e32 v30, 0
	v_cmp_ne_u32_e32 vcc, 0, v4
	s_and_saveexec_b64 s[74:75], vcc
	s_cbranch_execz .LBB2_902
; %bb.895:                              ;   in Loop: Header=BB2_738 Depth=2
	v_and_b32_e32 v23, 0x7fffff, v4
	v_bfe_u32 v4, v4, 23, 8
	v_cmp_gt_u32_e64 s[16:17], s38, v4
	v_sub_u32_e32 v24, 0x79, v4
	v_cmp_eq_u32_e32 vcc, 0, v4
	v_cndmask_b32_e64 v24, 0, v24, s[16:17]
	v_or_b32_e32 v27, 0x800000, v23
	v_cndmask_b32_e32 v30, v24, v8, vcc
	v_cndmask_b32_e32 v23, v27, v23, vcc
	v_add_u32_e32 v27, 20, v30
	v_lshlrev_b64 v[27:28], v27, -1
	v_add_u32_e32 v29, 19, v30
	v_lshlrev_b64 v[44:45], v29, 1
	v_mov_b32_e32 v24, v41
	v_bfi_b32 v28, v28, 0, 0
	v_bfi_b32 v27, v27, 0, v23
	v_cmp_eq_u64_e64 s[16:17], v[27:28], v[44:45]
	v_lshrrev_b64 v[27:28], v30, v[23:24]
	v_mov_b32_e32 v29, v28
	v_mov_b32_e32 v28, v27
	s_and_saveexec_b64 s[76:77], s[16:17]
; %bb.896:                              ;   in Loop: Header=BB2_738 Depth=2
	v_bfe_u32 v23, v27, 20, 1
	v_add_co_u32_e64 v23, s[16:17], v27, v23
	v_add_co_u32_e64 v28, s[16:17], -1, v23
; %bb.897:                              ;   in Loop: Header=BB2_738 Depth=2
	s_or_b64 exec, exec, s[76:77]
	v_add_u32_e32 v4, 0xffffff81, v4
	v_cndmask_b32_e32 v4, v4, v54, vcc
	v_lshrrev_b32_e32 v23, 23, v27
	v_add3_u32 v24, v30, v4, v23
	v_add_u32_e32 v23, 6, v24
	v_and_b32_e32 v4, 0xfffff, v28
	v_add_u32_e32 v27, v4, v27
	v_mov_b32_e32 v28, v41
	v_cmp_ne_u32_e32 vcc, 0, v23
                                        ; implicit-def: $vgpr4
	s_and_saveexec_b64 s[16:17], vcc
	s_xor_b64 s[16:17], exec, s[16:17]
; %bb.898:                              ;   in Loop: Header=BB2_738 Depth=2
	v_cmp_lt_u64_e32 vcc, s[58:59], v[27:28]
	v_add_u32_e32 v4, 7, v24
	v_cndmask_b32_e32 v4, v23, v4, vcc
	v_cndmask_b32_e64 v23, 0, 1, vcc
	v_lshrrev_b64 v[27:28], v23, v[27:28]
; %bb.899:                              ;   in Loop: Header=BB2_738 Depth=2
	s_andn2_saveexec_b64 s[16:17], s[16:17]
; %bb.900:                              ;   in Loop: Header=BB2_738 Depth=2
	v_bfe_u32 v4, v27, 23, 1
; %bb.901:                              ;   in Loop: Header=BB2_738 Depth=2
	s_or_b64 exec, exec, s[16:17]
	v_lshrrev_b64 v[23:24], 20, v[27:28]
	v_cmp_gt_i32_e32 vcc, 16, v4
	v_cndmask_b32_e32 v24, 0, v24, vcc
	v_cndmask_b32_e32 v23, 7, v23, vcc
	v_cmp_eq_u32_e32 vcc, 0, v4
	v_min_i32_e32 v4, 15, v4
	v_cmp_eq_u64_e64 s[16:17], 0, v[23:24]
	v_lshlrev_b32_e32 v4, 3, v4
	v_and_b32_e32 v4, 0xf8, v4
	v_and_or_b32 v4, v23, 7, v4
	s_and_b64 s[16:17], vcc, s[16:17]
	v_cndmask_b32_e64 v4, v4, 0, s[16:17]
	v_or_b32_e32 v30, v4, v0
.LBB2_902:                              ;   in Loop: Header=BB2_738 Depth=2
	s_or_b64 exec, exec, s[74:75]
                                        ; implicit-def: $vgpr0
.LBB2_903:                              ;   in Loop: Header=BB2_738 Depth=2
	s_andn2_saveexec_b64 s[16:17], s[72:73]
; %bb.904:                              ;   in Loop: Header=BB2_738 Depth=2
	v_or_b32_e32 v30, 0x7e, v0
; %bb.905:                              ;   in Loop: Header=BB2_738 Depth=2
	s_or_b64 exec, exec, s[16:17]
                                        ; implicit-def: $vgpr4
.LBB2_906:                              ;   in Loop: Header=BB2_738 Depth=2
	s_andn2_saveexec_b64 s[16:17], s[62:63]
; %bb.907:                              ;   in Loop: Header=BB2_738 Depth=2
	v_or_b32_sdwa v30, v4, s37 dst_sel:DWORD dst_unused:UNUSED_PAD src0_sel:BYTE_3 src1_sel:DWORD
; %bb.908:                              ;   in Loop: Header=BB2_738 Depth=2
	s_or_b64 exec, exec, s[16:17]
	v_cmp_lt_u32_e32 vcc, s39, v40
	v_mov_b32_e32 v4, 0
	s_and_saveexec_b64 s[16:17], vcc
	s_cbranch_execz .LBB2_914
; %bb.909:                              ;   in Loop: Header=BB2_738 Depth=2
	v_lshrrev_b32_e32 v0, 24, v40
	v_cmp_ne_u32_sdwa s[72:73], v40, s36 src0_sel:BYTE_3 src1_sel:DWORD
	v_bfrev_b32_e32 v4, 1
	s_and_saveexec_b64 s[62:63], s[72:73]
	s_cbranch_execz .LBB2_913
; %bb.910:                              ;   in Loop: Header=BB2_738 Depth=2
	v_bfe_u32 v23, v40, 24, 7
	v_cmp_ne_u32_e32 vcc, s37, v23
	v_mov_b32_e32 v4, 0x7f800001
	s_and_saveexec_b64 s[72:73], vcc
	s_cbranch_execz .LBB2_912
; %bb.911:                              ;   in Loop: Header=BB2_738 Depth=2
	v_and_b32_e32 v4, 7, v0
	v_lshrrev_b32_e32 v27, 3, v23
	v_cmp_gt_u32_e32 vcc, 8, v23
	v_ffbh_u32_e32 v23, v4
	v_min_u32_e32 v28, 32, v23
	v_subrev_u32_e32 v23, 28, v28
	v_lshlrev_b64 v[23:24], v23, v[0:1]
	v_sub_u32_e32 v0, 29, v28
	v_and_b32_e32 v23, 7, v23
	v_cndmask_b32_e32 v0, v27, v0, vcc
	v_cndmask_b32_e32 v4, v4, v23, vcc
	v_lshlrev_b32_sdwa v23, v55, v40 dst_sel:DWORD dst_unused:UNUSED_PAD src0_sel:DWORD src1_sel:BYTE_3
	v_lshlrev_b32_e32 v4, 20, v4
	v_and_b32_e32 v23, 0x80000000, v23
	v_lshl_add_u32 v0, v0, 23, v7
	v_or3_b32 v4, v23, v0, v4
.LBB2_912:                              ;   in Loop: Header=BB2_738 Depth=2
	s_or_b64 exec, exec, s[72:73]
.LBB2_913:                              ;   in Loop: Header=BB2_738 Depth=2
	s_or_b64 exec, exec, s[62:63]
.LBB2_914:                              ;   in Loop: Header=BB2_738 Depth=2
	s_or_b64 exec, exec, s[16:17]
	v_mul_f32_e32 v4, v62, v4
	v_and_b32_e32 v40, 0x7f800000, v4
	v_cmp_ne_u64_e32 vcc, s[46:47], v[40:41]
                                        ; implicit-def: $vgpr32
	s_and_saveexec_b64 s[16:17], vcc
	s_xor_b64 s[62:63], exec, s[16:17]
	s_cbranch_execz .LBB2_928
; %bb.915:                              ;   in Loop: Header=BB2_738 Depth=2
	v_and_b32_e32 v40, 0x7fffffff, v4
	v_cmp_gt_u64_e32 vcc, s[56:57], v[40:41]
	v_and_b32_sdwa v0, v4, s36 dst_sel:DWORD dst_unused:UNUSED_PAD src0_sel:BYTE_3 src1_sel:DWORD
                                        ; implicit-def: $vgpr32
	s_and_saveexec_b64 s[16:17], vcc
	s_xor_b64 s[72:73], exec, s[16:17]
	s_cbranch_execz .LBB2_925
; %bb.916:                              ;   in Loop: Header=BB2_738 Depth=2
	v_mov_b32_e32 v32, 0
	v_cmp_ne_u32_e32 vcc, 0, v4
	s_and_saveexec_b64 s[74:75], vcc
	s_cbranch_execz .LBB2_924
; %bb.917:                              ;   in Loop: Header=BB2_738 Depth=2
	v_and_b32_e32 v23, 0x7fffff, v4
	v_bfe_u32 v4, v4, 23, 8
	v_cmp_gt_u32_e64 s[16:17], s38, v4
	v_sub_u32_e32 v24, 0x79, v4
	v_cmp_eq_u32_e32 vcc, 0, v4
	v_cndmask_b32_e64 v24, 0, v24, s[16:17]
	v_or_b32_e32 v27, 0x800000, v23
	v_cndmask_b32_e32 v32, v24, v8, vcc
	v_cndmask_b32_e32 v40, v27, v23, vcc
	v_add_u32_e32 v23, 20, v32
	v_lshlrev_b64 v[23:24], v23, -1
	v_add_u32_e32 v27, 19, v32
	v_lshlrev_b64 v[27:28], v27, 1
	v_bfi_b32 v24, v24, 0, 0
	v_bfi_b32 v23, v23, 0, v40
	v_cmp_eq_u64_e64 s[16:17], v[23:24], v[27:28]
	v_lshrrev_b64 v[27:28], v32, v[40:41]
	v_mov_b32_e32 v29, v28
	v_mov_b32_e32 v28, v27
	s_and_saveexec_b64 s[76:77], s[16:17]
; %bb.918:                              ;   in Loop: Header=BB2_738 Depth=2
	v_bfe_u32 v23, v27, 20, 1
	v_add_co_u32_e64 v23, s[16:17], v27, v23
	v_add_co_u32_e64 v28, s[16:17], -1, v23
; %bb.919:                              ;   in Loop: Header=BB2_738 Depth=2
	s_or_b64 exec, exec, s[76:77]
	v_add_u32_e32 v4, 0xffffff81, v4
	v_cndmask_b32_e32 v4, v4, v54, vcc
	v_lshrrev_b32_e32 v23, 23, v27
	v_add3_u32 v24, v32, v4, v23
	v_add_u32_e32 v23, 6, v24
	v_and_b32_e32 v4, 0xfffff, v28
	v_add_u32_e32 v40, v4, v27
	v_cmp_ne_u32_e32 vcc, 0, v23
                                        ; implicit-def: $vgpr27_vgpr28
                                        ; implicit-def: $vgpr4
	s_and_saveexec_b64 s[16:17], vcc
	s_xor_b64 s[16:17], exec, s[16:17]
; %bb.920:                              ;   in Loop: Header=BB2_738 Depth=2
	v_cmp_lt_u64_e32 vcc, s[58:59], v[40:41]
	v_add_u32_e32 v4, 7, v24
	v_cndmask_b32_e32 v4, v23, v4, vcc
	v_cndmask_b32_e64 v23, 0, 1, vcc
	v_lshrrev_b64 v[27:28], v23, v[40:41]
; %bb.921:                              ;   in Loop: Header=BB2_738 Depth=2
	s_andn2_saveexec_b64 s[16:17], s[16:17]
; %bb.922:                              ;   in Loop: Header=BB2_738 Depth=2
	v_mov_b32_e32 v27, v40
	v_bfe_u32 v4, v40, 23, 1
	v_mov_b32_e32 v28, v41
; %bb.923:                              ;   in Loop: Header=BB2_738 Depth=2
	s_or_b64 exec, exec, s[16:17]
	v_lshrrev_b64 v[23:24], 20, v[27:28]
	v_cmp_gt_i32_e32 vcc, 16, v4
	v_cndmask_b32_e32 v24, 0, v24, vcc
	v_cndmask_b32_e32 v23, 7, v23, vcc
	v_cmp_eq_u32_e32 vcc, 0, v4
	v_min_i32_e32 v4, 15, v4
	v_cmp_eq_u64_e64 s[16:17], 0, v[23:24]
	v_lshlrev_b32_e32 v4, 3, v4
	v_and_b32_e32 v4, 0xf8, v4
	v_and_or_b32 v4, v23, 7, v4
	s_and_b64 s[16:17], vcc, s[16:17]
	v_cndmask_b32_e64 v4, v4, 0, s[16:17]
	v_or_b32_e32 v32, v4, v0
.LBB2_924:                              ;   in Loop: Header=BB2_738 Depth=2
	s_or_b64 exec, exec, s[74:75]
                                        ; implicit-def: $vgpr0
.LBB2_925:                              ;   in Loop: Header=BB2_738 Depth=2
	s_andn2_saveexec_b64 s[16:17], s[72:73]
; %bb.926:                              ;   in Loop: Header=BB2_738 Depth=2
	v_or_b32_e32 v32, 0x7e, v0
; %bb.927:                              ;   in Loop: Header=BB2_738 Depth=2
	s_or_b64 exec, exec, s[16:17]
                                        ; implicit-def: $vgpr4
.LBB2_928:                              ;   in Loop: Header=BB2_738 Depth=2
	s_andn2_saveexec_b64 s[16:17], s[62:63]
; %bb.929:                              ;   in Loop: Header=BB2_738 Depth=2
	v_or_b32_sdwa v32, v4, s37 dst_sel:DWORD dst_unused:UNUSED_PAD src0_sel:BYTE_3 src1_sel:DWORD
; %bb.930:                              ;   in Loop: Header=BB2_738 Depth=2
	s_or_b64 exec, exec, s[16:17]
	s_waitcnt vmcnt(0)
	v_cmp_ne_u16_sdwa s[62:63], v17, v41 src0_sel:BYTE_0 src1_sel:DWORD
	v_mov_b32_e32 v0, 0
	v_mov_b32_e32 v27, 0
	s_and_saveexec_b64 s[16:17], s[62:63]
	s_cbranch_execz .LBB2_936
; %bb.931:                              ;   in Loop: Header=BB2_738 Depth=2
	v_cmp_ne_u16_sdwa s[72:73], v17, s36 src0_sel:BYTE_0 src1_sel:DWORD
	v_bfrev_b32_e32 v27, 1
	s_and_saveexec_b64 s[62:63], s[72:73]
	s_cbranch_execz .LBB2_935
; %bb.932:                              ;   in Loop: Header=BB2_738 Depth=2
	v_and_b32_e32 v4, 0x7f, v17
	v_cmp_ne_u32_e32 vcc, s37, v4
	v_mov_b32_e32 v27, 0x7f800001
	s_and_saveexec_b64 s[72:73], vcc
	s_cbranch_execz .LBB2_934
; %bb.933:                              ;   in Loop: Header=BB2_738 Depth=2
	v_and_b32_e32 v23, 7, v17
	v_lshrrev_b32_e32 v24, 3, v4
	v_cmp_gt_u32_e32 vcc, 8, v4
	v_ffbh_u32_e32 v4, v23
	v_min_u32_e32 v4, 32, v4
	v_subrev_u32_e32 v23, 28, v4
	v_sub_u32_e32 v4, 29, v4
	v_cndmask_b32_e32 v23, 0, v23, vcc
	v_cndmask_b32_e32 v4, v24, v4, vcc
	v_lshlrev_b64 v[23:24], v23, v[17:18]
	v_lshl_add_u32 v4, v4, 23, v7
	v_lshlrev_b32_e32 v18, 20, v23
	v_lshlrev_b32_e32 v23, 24, v17
	v_and_b32_e32 v18, 0x700000, v18
	v_and_b32_e32 v23, 0x80000000, v23
	v_or3_b32 v27, v23, v4, v18
.LBB2_934:                              ;   in Loop: Header=BB2_738 Depth=2
	s_or_b64 exec, exec, s[72:73]
.LBB2_935:                              ;   in Loop: Header=BB2_738 Depth=2
	s_or_b64 exec, exec, s[62:63]
.LBB2_936:                              ;   in Loop: Header=BB2_738 Depth=2
	s_or_b64 exec, exec, s[16:17]
	v_lshl_or_b32 v4, v11, 8, v9
	v_lshlrev_b32_e32 v11, 16, v31
	v_lshlrev_b32_e32 v18, 24, v33
	v_or3_b32 v40, v11, v18, v4
	v_cmp_ne_u32_e32 vcc, 0, v9
	s_and_saveexec_b64 s[16:17], vcc
	s_cbranch_execz .LBB2_942
; %bb.937:                              ;   in Loop: Header=BB2_738 Depth=2
	v_cmp_ne_u32_e32 vcc, s36, v9
	v_bfrev_b32_e32 v0, 1
	s_and_saveexec_b64 s[62:63], vcc
	s_cbranch_execz .LBB2_941
; %bb.938:                              ;   in Loop: Header=BB2_738 Depth=2
	v_and_b32_e32 v11, 0x7f, v9
	v_cmp_ne_u32_e32 vcc, s37, v11
	v_mov_b32_e32 v0, 0x7f800001
	s_and_saveexec_b64 s[72:73], vcc
	s_cbranch_execz .LBB2_940
; %bb.939:                              ;   in Loop: Header=BB2_738 Depth=2
	v_and_b32_e32 v0, 7, v9
	v_ffbh_u32_e32 v0, v0
	v_min_u32_e32 v0, 32, v0
	v_lshrrev_b32_e32 v9, 3, v11
	v_cmp_gt_u32_e32 vcc, 8, v11
	v_subrev_u32_e32 v11, 28, v0
	v_sub_u32_e32 v0, 29, v0
	v_cndmask_b32_e32 v0, v9, v0, vcc
	v_cndmask_b32_e32 v9, 0, v11, vcc
	v_lshlrev_b64 v[23:24], v9, v[40:41]
	v_lshlrev_b32_e32 v11, 24, v40
	v_lshlrev_b32_e32 v9, 20, v23
	v_and_b32_e32 v9, 0x700000, v9
	v_and_b32_e32 v11, 0x80000000, v11
	v_lshl_add_u32 v0, v0, 23, v7
	v_or3_b32 v0, v11, v0, v9
.LBB2_940:                              ;   in Loop: Header=BB2_738 Depth=2
	s_or_b64 exec, exec, s[72:73]
.LBB2_941:                              ;   in Loop: Header=BB2_738 Depth=2
	s_or_b64 exec, exec, s[62:63]
.LBB2_942:                              ;   in Loop: Header=BB2_738 Depth=2
	s_or_b64 exec, exec, s[16:17]
	v_add_f32_e32 v11, v27, v0
	v_and_b32_e32 v23, 0x7f800000, v11
	v_mov_b32_e32 v24, v41
	v_cmp_ne_u64_e32 vcc, s[46:47], v[23:24]
                                        ; implicit-def: $vgpr9
	s_and_saveexec_b64 s[16:17], vcc
	s_xor_b64 s[62:63], exec, s[16:17]
	s_cbranch_execz .LBB2_956
; %bb.943:                              ;   in Loop: Header=BB2_738 Depth=2
	v_and_b32_e32 v23, 0x7fffffff, v11
	v_mov_b32_e32 v24, v41
	v_cmp_gt_u64_e32 vcc, s[56:57], v[23:24]
	v_and_b32_sdwa v0, v11, s36 dst_sel:DWORD dst_unused:UNUSED_PAD src0_sel:BYTE_3 src1_sel:DWORD
                                        ; implicit-def: $vgpr9
	s_and_saveexec_b64 s[16:17], vcc
	s_xor_b64 s[72:73], exec, s[16:17]
	s_cbranch_execz .LBB2_953
; %bb.944:                              ;   in Loop: Header=BB2_738 Depth=2
	v_mov_b32_e32 v9, 0
	v_cmp_ne_u32_e32 vcc, 0, v11
	s_and_saveexec_b64 s[74:75], vcc
	s_cbranch_execz .LBB2_952
; %bb.945:                              ;   in Loop: Header=BB2_738 Depth=2
	v_bfe_u32 v9, v11, 23, 8
	v_and_b32_e32 v18, 0x7fffff, v11
	v_cmp_gt_u32_e64 s[16:17], s38, v9
	v_sub_u32_e32 v11, 0x79, v9
	v_cmp_eq_u32_e32 vcc, 0, v9
	v_cndmask_b32_e64 v11, 0, v11, s[16:17]
	v_or_b32_e32 v23, 0x800000, v18
	v_cndmask_b32_e32 v11, v11, v8, vcc
	v_cndmask_b32_e32 v23, v23, v18, vcc
	v_add_u32_e32 v18, 20, v11
	v_lshlrev_b64 v[27:28], v18, -1
	v_add_u32_e32 v18, 19, v11
	v_lshlrev_b64 v[44:45], v18, 1
	v_mov_b32_e32 v24, v41
	v_bfi_b32 v28, v28, 0, 0
	v_bfi_b32 v27, v27, 0, v23
	v_cmp_eq_u64_e64 s[16:17], v[27:28], v[44:45]
	v_lshrrev_b64 v[27:28], v11, v[23:24]
	v_mov_b32_e32 v29, v28
	v_mov_b32_e32 v28, v27
	s_and_saveexec_b64 s[76:77], s[16:17]
; %bb.946:                              ;   in Loop: Header=BB2_738 Depth=2
	v_bfe_u32 v18, v27, 20, 1
	v_add_co_u32_e64 v18, s[16:17], v27, v18
	v_add_co_u32_e64 v28, s[16:17], -1, v18
; %bb.947:                              ;   in Loop: Header=BB2_738 Depth=2
	s_or_b64 exec, exec, s[76:77]
	v_add_u32_e32 v9, 0xffffff81, v9
	v_cndmask_b32_e32 v9, v9, v54, vcc
	v_lshrrev_b32_e32 v18, 23, v27
	v_add3_u32 v18, v11, v9, v18
	v_add_u32_e32 v11, 6, v18
	v_and_b32_e32 v9, 0xfffff, v28
	v_add_u32_e32 v27, v9, v27
	v_mov_b32_e32 v28, v41
	v_cmp_ne_u32_e32 vcc, 0, v11
                                        ; implicit-def: $vgpr9
	s_and_saveexec_b64 s[16:17], vcc
	s_xor_b64 s[16:17], exec, s[16:17]
; %bb.948:                              ;   in Loop: Header=BB2_738 Depth=2
	v_cmp_lt_u64_e32 vcc, s[58:59], v[27:28]
	v_add_u32_e32 v9, 7, v18
	v_cndmask_b32_e32 v9, v11, v9, vcc
	v_cndmask_b32_e64 v11, 0, 1, vcc
	v_lshrrev_b64 v[27:28], v11, v[27:28]
; %bb.949:                              ;   in Loop: Header=BB2_738 Depth=2
	s_andn2_saveexec_b64 s[16:17], s[16:17]
; %bb.950:                              ;   in Loop: Header=BB2_738 Depth=2
	v_bfe_u32 v9, v27, 23, 1
; %bb.951:                              ;   in Loop: Header=BB2_738 Depth=2
	s_or_b64 exec, exec, s[16:17]
	v_lshrrev_b64 v[23:24], 20, v[27:28]
	v_cmp_gt_i32_e32 vcc, 16, v9
	v_cndmask_b32_e32 v24, 0, v24, vcc
	v_cndmask_b32_e32 v23, 7, v23, vcc
	v_cmp_eq_u32_e32 vcc, 0, v9
	v_min_i32_e32 v9, 15, v9
	v_cmp_eq_u64_e64 s[16:17], 0, v[23:24]
	v_lshlrev_b32_e32 v9, 3, v9
	v_and_b32_e32 v9, 0xf8, v9
	v_and_or_b32 v9, v23, 7, v9
	s_and_b64 s[16:17], vcc, s[16:17]
	v_cndmask_b32_e64 v9, v9, 0, s[16:17]
	v_or_b32_e32 v9, v9, v0
.LBB2_952:                              ;   in Loop: Header=BB2_738 Depth=2
	s_or_b64 exec, exec, s[74:75]
                                        ; implicit-def: $vgpr0
.LBB2_953:                              ;   in Loop: Header=BB2_738 Depth=2
	s_andn2_saveexec_b64 s[16:17], s[72:73]
; %bb.954:                              ;   in Loop: Header=BB2_738 Depth=2
	v_or_b32_e32 v9, 0x7e, v0
; %bb.955:                              ;   in Loop: Header=BB2_738 Depth=2
	s_or_b64 exec, exec, s[16:17]
                                        ; implicit-def: $vgpr11
.LBB2_956:                              ;   in Loop: Header=BB2_738 Depth=2
	s_andn2_saveexec_b64 s[16:17], s[62:63]
; %bb.957:                              ;   in Loop: Header=BB2_738 Depth=2
	v_or_b32_sdwa v9, v11, s37 dst_sel:DWORD dst_unused:UNUSED_PAD src0_sel:BYTE_3 src1_sel:DWORD
; %bb.958:                              ;   in Loop: Header=BB2_738 Depth=2
	s_or_b64 exec, exec, s[16:17]
	v_lshrrev_b16_e32 v0, 8, v17
	v_cmp_ne_u16_e32 vcc, 0, v0
	v_mov_b32_e32 v11, 0
	v_mov_b32_e32 v18, 0
	s_and_saveexec_b64 s[16:17], vcc
	s_cbranch_execz .LBB2_964
; %bb.959:                              ;   in Loop: Header=BB2_738 Depth=2
	v_cmp_ne_u16_e32 vcc, s36, v0
	v_bfrev_b32_e32 v18, 1
	s_and_saveexec_b64 s[62:63], vcc
	s_cbranch_execz .LBB2_963
; %bb.960:                              ;   in Loop: Header=BB2_738 Depth=2
	v_and_b32_e32 v23, 0x7f, v0
	v_cmp_ne_u32_e32 vcc, s37, v23
	v_mov_b32_e32 v18, 0x7f800001
	s_and_saveexec_b64 s[72:73], vcc
	s_cbranch_execz .LBB2_962
; %bb.961:                              ;   in Loop: Header=BB2_738 Depth=2
	v_and_b32_e32 v18, 7, v0
	v_lshrrev_b32_e32 v27, 3, v23
	v_cmp_gt_u32_e32 vcc, 8, v23
	v_ffbh_u32_e32 v23, v18
	v_min_u32_e32 v28, 32, v23
	v_subrev_u32_e32 v23, 28, v28
	v_lshlrev_b64 v[23:24], v23, v[0:1]
	v_sub_u32_e32 v0, 29, v28
	v_and_b32_e32 v23, 7, v23
	v_cndmask_b32_e32 v0, v27, v0, vcc
	v_cndmask_b32_e32 v18, v18, v23, vcc
	v_lshlrev_b32_e32 v23, 16, v17
	v_lshlrev_b32_e32 v18, 20, v18
	v_and_b32_e32 v23, 0x80000000, v23
	v_lshl_add_u32 v0, v0, 23, v7
	v_or3_b32 v18, v23, v0, v18
.LBB2_962:                              ;   in Loop: Header=BB2_738 Depth=2
	s_or_b64 exec, exec, s[72:73]
.LBB2_963:                              ;   in Loop: Header=BB2_738 Depth=2
	s_or_b64 exec, exec, s[62:63]
.LBB2_964:                              ;   in Loop: Header=BB2_738 Depth=2
	s_or_b64 exec, exec, s[16:17]
	v_lshrrev_b16_e32 v0, 8, v4
	v_cmp_ne_u16_e32 vcc, 0, v0
	s_and_saveexec_b64 s[16:17], vcc
	s_cbranch_execz .LBB2_970
; %bb.965:                              ;   in Loop: Header=BB2_738 Depth=2
	v_cmp_ne_u16_e32 vcc, s36, v0
	v_bfrev_b32_e32 v11, 1
	s_and_saveexec_b64 s[62:63], vcc
	s_cbranch_execz .LBB2_969
; %bb.966:                              ;   in Loop: Header=BB2_738 Depth=2
	v_and_b32_e32 v23, 0x7f, v0
	v_cmp_ne_u32_e32 vcc, s37, v23
	v_mov_b32_e32 v11, 0x7f800001
	s_and_saveexec_b64 s[72:73], vcc
	s_cbranch_execz .LBB2_968
; %bb.967:                              ;   in Loop: Header=BB2_738 Depth=2
	v_and_b32_e32 v11, 7, v0
	v_lshrrev_b32_e32 v27, 3, v23
	v_cmp_gt_u32_e32 vcc, 8, v23
	v_ffbh_u32_e32 v23, v11
	v_min_u32_e32 v28, 32, v23
	v_subrev_u32_e32 v23, 28, v28
	v_lshlrev_b64 v[23:24], v23, v[0:1]
	v_sub_u32_e32 v0, 29, v28
	v_and_b32_e32 v23, 7, v23
	v_cndmask_b32_e32 v0, v27, v0, vcc
	v_cndmask_b32_e32 v11, v11, v23, vcc
	v_lshlrev_b32_e32 v4, 16, v4
	v_lshlrev_b32_e32 v11, 20, v11
	v_and_b32_e32 v4, 0x80000000, v4
	v_lshl_add_u32 v0, v0, 23, v7
	v_or3_b32 v11, v4, v0, v11
.LBB2_968:                              ;   in Loop: Header=BB2_738 Depth=2
	s_or_b64 exec, exec, s[72:73]
.LBB2_969:                              ;   in Loop: Header=BB2_738 Depth=2
	s_or_b64 exec, exec, s[62:63]
.LBB2_970:                              ;   in Loop: Header=BB2_738 Depth=2
	s_or_b64 exec, exec, s[16:17]
	v_add_f32_e32 v4, v18, v11
	v_and_b32_e32 v23, 0x7f800000, v4
	v_mov_b32_e32 v24, v41
	v_cmp_ne_u64_e32 vcc, s[46:47], v[23:24]
                                        ; implicit-def: $vgpr11
	s_and_saveexec_b64 s[16:17], vcc
	s_xor_b64 s[62:63], exec, s[16:17]
	s_cbranch_execz .LBB2_984
; %bb.971:                              ;   in Loop: Header=BB2_738 Depth=2
	v_and_b32_e32 v23, 0x7fffffff, v4
	v_mov_b32_e32 v24, v41
	v_cmp_gt_u64_e32 vcc, s[56:57], v[23:24]
	v_and_b32_sdwa v0, v4, s36 dst_sel:DWORD dst_unused:UNUSED_PAD src0_sel:BYTE_3 src1_sel:DWORD
                                        ; implicit-def: $vgpr11
	s_and_saveexec_b64 s[16:17], vcc
	s_xor_b64 s[72:73], exec, s[16:17]
	s_cbranch_execz .LBB2_981
; %bb.972:                              ;   in Loop: Header=BB2_738 Depth=2
	v_mov_b32_e32 v11, 0
	v_cmp_ne_u32_e32 vcc, 0, v4
	s_and_saveexec_b64 s[74:75], vcc
	s_cbranch_execz .LBB2_980
; %bb.973:                              ;   in Loop: Header=BB2_738 Depth=2
	v_and_b32_e32 v18, 0x7fffff, v4
	v_bfe_u32 v4, v4, 23, 8
	v_cmp_gt_u32_e64 s[16:17], s38, v4
	v_sub_u32_e32 v11, 0x79, v4
	v_cmp_eq_u32_e32 vcc, 0, v4
	v_cndmask_b32_e64 v11, 0, v11, s[16:17]
	v_or_b32_e32 v23, 0x800000, v18
	v_cndmask_b32_e32 v11, v11, v8, vcc
	v_cndmask_b32_e32 v23, v23, v18, vcc
	v_add_u32_e32 v18, 20, v11
	v_lshlrev_b64 v[27:28], v18, -1
	v_add_u32_e32 v18, 19, v11
	v_lshlrev_b64 v[44:45], v18, 1
	v_mov_b32_e32 v24, v41
	v_bfi_b32 v28, v28, 0, 0
	v_bfi_b32 v27, v27, 0, v23
	v_cmp_eq_u64_e64 s[16:17], v[27:28], v[44:45]
	v_lshrrev_b64 v[27:28], v11, v[23:24]
	v_mov_b32_e32 v29, v28
	v_mov_b32_e32 v28, v27
	s_and_saveexec_b64 s[76:77], s[16:17]
; %bb.974:                              ;   in Loop: Header=BB2_738 Depth=2
	v_bfe_u32 v18, v27, 20, 1
	v_add_co_u32_e64 v18, s[16:17], v27, v18
	v_add_co_u32_e64 v28, s[16:17], -1, v18
; %bb.975:                              ;   in Loop: Header=BB2_738 Depth=2
	s_or_b64 exec, exec, s[76:77]
	v_add_u32_e32 v4, 0xffffff81, v4
	v_cndmask_b32_e32 v4, v4, v54, vcc
	v_lshrrev_b32_e32 v18, 23, v27
	v_add3_u32 v18, v11, v4, v18
	v_add_u32_e32 v11, 6, v18
	v_and_b32_e32 v4, 0xfffff, v28
	v_add_u32_e32 v27, v4, v27
	v_mov_b32_e32 v28, v41
	v_cmp_ne_u32_e32 vcc, 0, v11
                                        ; implicit-def: $vgpr4
	s_and_saveexec_b64 s[16:17], vcc
	s_xor_b64 s[16:17], exec, s[16:17]
; %bb.976:                              ;   in Loop: Header=BB2_738 Depth=2
	v_cmp_lt_u64_e32 vcc, s[58:59], v[27:28]
	v_add_u32_e32 v4, 7, v18
	v_cndmask_b32_e32 v4, v11, v4, vcc
	v_cndmask_b32_e64 v11, 0, 1, vcc
	v_lshrrev_b64 v[27:28], v11, v[27:28]
; %bb.977:                              ;   in Loop: Header=BB2_738 Depth=2
	s_andn2_saveexec_b64 s[16:17], s[16:17]
; %bb.978:                              ;   in Loop: Header=BB2_738 Depth=2
	v_bfe_u32 v4, v27, 23, 1
; %bb.979:                              ;   in Loop: Header=BB2_738 Depth=2
	s_or_b64 exec, exec, s[16:17]
	v_lshrrev_b64 v[23:24], 20, v[27:28]
	v_cmp_gt_i32_e32 vcc, 16, v4
	v_cndmask_b32_e32 v24, 0, v24, vcc
	v_cndmask_b32_e32 v23, 7, v23, vcc
	v_cmp_eq_u32_e32 vcc, 0, v4
	v_min_i32_e32 v4, 15, v4
	v_cmp_eq_u64_e64 s[16:17], 0, v[23:24]
	v_lshlrev_b32_e32 v4, 3, v4
	v_and_b32_e32 v4, 0xf8, v4
	v_and_or_b32 v4, v23, 7, v4
	s_and_b64 s[16:17], vcc, s[16:17]
	v_cndmask_b32_e64 v4, v4, 0, s[16:17]
	v_or_b32_e32 v11, v4, v0
.LBB2_980:                              ;   in Loop: Header=BB2_738 Depth=2
	s_or_b64 exec, exec, s[74:75]
                                        ; implicit-def: $vgpr0
.LBB2_981:                              ;   in Loop: Header=BB2_738 Depth=2
	s_andn2_saveexec_b64 s[16:17], s[72:73]
; %bb.982:                              ;   in Loop: Header=BB2_738 Depth=2
	v_or_b32_e32 v11, 0x7e, v0
; %bb.983:                              ;   in Loop: Header=BB2_738 Depth=2
	s_or_b64 exec, exec, s[16:17]
                                        ; implicit-def: $vgpr4
.LBB2_984:                              ;   in Loop: Header=BB2_738 Depth=2
	s_andn2_saveexec_b64 s[16:17], s[62:63]
; %bb.985:                              ;   in Loop: Header=BB2_738 Depth=2
	v_or_b32_sdwa v11, v4, s37 dst_sel:DWORD dst_unused:UNUSED_PAD src0_sel:BYTE_3 src1_sel:DWORD
; %bb.986:                              ;   in Loop: Header=BB2_738 Depth=2
	s_or_b64 exec, exec, s[16:17]
	v_lshrrev_b32_e32 v0, 16, v17
	v_cmp_ne_u16_sdwa s[62:63], v0, v41 src0_sel:BYTE_0 src1_sel:DWORD
	v_mov_b32_e32 v4, 0
	v_mov_b32_e32 v18, 0
	s_and_saveexec_b64 s[16:17], s[62:63]
	s_cbranch_execz .LBB2_992
; %bb.987:                              ;   in Loop: Header=BB2_738 Depth=2
	v_cmp_ne_u16_sdwa s[72:73], v0, s36 src0_sel:BYTE_0 src1_sel:DWORD
	v_bfrev_b32_e32 v18, 1
	s_and_saveexec_b64 s[62:63], s[72:73]
	s_cbranch_execz .LBB2_991
; %bb.988:                              ;   in Loop: Header=BB2_738 Depth=2
	v_bfe_u32 v23, v17, 16, 7
	v_cmp_ne_u32_e32 vcc, s37, v23
	v_mov_b32_e32 v18, 0x7f800001
	s_and_saveexec_b64 s[72:73], vcc
	s_cbranch_execz .LBB2_990
; %bb.989:                              ;   in Loop: Header=BB2_738 Depth=2
	v_and_b32_e32 v18, 7, v0
	v_lshrrev_b32_e32 v27, 3, v23
	v_cmp_gt_u32_e32 vcc, 8, v23
	v_ffbh_u32_e32 v23, v18
	v_min_u32_e32 v28, 32, v23
	v_subrev_u32_e32 v23, 28, v28
	v_lshlrev_b64 v[23:24], v23, v[0:1]
	v_sub_u32_e32 v24, 29, v28
	v_and_b32_e32 v23, 7, v23
	v_cndmask_b32_e32 v24, v27, v24, vcc
	v_cndmask_b32_e32 v18, v18, v23, vcc
	v_lshlrev_b32_e32 v0, 24, v0
	v_lshlrev_b32_e32 v18, 20, v18
	v_and_b32_e32 v0, 0x80000000, v0
	v_lshl_add_u32 v23, v24, 23, v7
	v_or3_b32 v18, v0, v23, v18
.LBB2_990:                              ;   in Loop: Header=BB2_738 Depth=2
	s_or_b64 exec, exec, s[72:73]
.LBB2_991:                              ;   in Loop: Header=BB2_738 Depth=2
	s_or_b64 exec, exec, s[62:63]
.LBB2_992:                              ;   in Loop: Header=BB2_738 Depth=2
	s_or_b64 exec, exec, s[16:17]
	v_and_b32_sdwa v23, v40, s35 dst_sel:DWORD dst_unused:UNUSED_PAD src0_sel:WORD_1 src1_sel:DWORD
	v_lshrrev_b32_e32 v0, 16, v40
	v_cmp_ne_u16_e32 vcc, 0, v23
	s_and_saveexec_b64 s[16:17], vcc
	s_cbranch_execz .LBB2_998
; %bb.993:                              ;   in Loop: Header=BB2_738 Depth=2
	v_cmp_ne_u16_e32 vcc, s36, v23
	v_bfrev_b32_e32 v4, 1
	s_and_saveexec_b64 s[62:63], vcc
	s_cbranch_execz .LBB2_997
; %bb.994:                              ;   in Loop: Header=BB2_738 Depth=2
	v_bfe_u32 v23, v40, 16, 7
	v_cmp_ne_u32_e32 vcc, s37, v23
	v_mov_b32_e32 v4, 0x7f800001
	s_and_saveexec_b64 s[72:73], vcc
	s_cbranch_execz .LBB2_996
; %bb.995:                              ;   in Loop: Header=BB2_738 Depth=2
	v_and_b32_e32 v4, 7, v0
	v_lshrrev_b32_e32 v27, 3, v23
	v_cmp_gt_u32_e32 vcc, 8, v23
	v_ffbh_u32_e32 v23, v4
	v_min_u32_e32 v28, 32, v23
	v_subrev_u32_e32 v23, 28, v28
	v_lshlrev_b64 v[23:24], v23, v[0:1]
	v_sub_u32_e32 v0, 29, v28
	v_and_b32_e32 v23, 7, v23
	v_cndmask_b32_e32 v0, v27, v0, vcc
	v_cndmask_b32_e32 v4, v4, v23, vcc
	v_lshlrev_b32_e32 v23, 8, v40
	v_lshlrev_b32_e32 v4, 20, v4
	v_and_b32_e32 v23, 0x80000000, v23
	v_lshl_add_u32 v0, v0, 23, v7
	v_or3_b32 v4, v23, v0, v4
.LBB2_996:                              ;   in Loop: Header=BB2_738 Depth=2
	s_or_b64 exec, exec, s[72:73]
.LBB2_997:                              ;   in Loop: Header=BB2_738 Depth=2
	s_or_b64 exec, exec, s[62:63]
.LBB2_998:                              ;   in Loop: Header=BB2_738 Depth=2
	s_or_b64 exec, exec, s[16:17]
	v_add_f32_e32 v4, v18, v4
	v_and_b32_e32 v23, 0x7f800000, v4
	v_mov_b32_e32 v24, v41
	v_cmp_ne_u64_e32 vcc, s[46:47], v[23:24]
                                        ; implicit-def: $vgpr29
	s_and_saveexec_b64 s[16:17], vcc
	s_xor_b64 s[62:63], exec, s[16:17]
	s_cbranch_execz .LBB2_1012
; %bb.999:                              ;   in Loop: Header=BB2_738 Depth=2
	v_and_b32_e32 v23, 0x7fffffff, v4
	v_mov_b32_e32 v24, v41
	v_cmp_gt_u64_e32 vcc, s[56:57], v[23:24]
	v_and_b32_sdwa v0, v4, s36 dst_sel:DWORD dst_unused:UNUSED_PAD src0_sel:BYTE_3 src1_sel:DWORD
                                        ; implicit-def: $vgpr29
	s_and_saveexec_b64 s[16:17], vcc
	s_xor_b64 s[72:73], exec, s[16:17]
	s_cbranch_execz .LBB2_1009
; %bb.1000:                             ;   in Loop: Header=BB2_738 Depth=2
	v_mov_b32_e32 v29, 0
	v_cmp_ne_u32_e32 vcc, 0, v4
	s_and_saveexec_b64 s[74:75], vcc
	s_cbranch_execz .LBB2_1008
; %bb.1001:                             ;   in Loop: Header=BB2_738 Depth=2
	v_and_b32_e32 v23, 0x7fffff, v4
	v_bfe_u32 v4, v4, 23, 8
	v_cmp_gt_u32_e64 s[16:17], s38, v4
	v_sub_u32_e32 v18, 0x79, v4
	v_cmp_eq_u32_e32 vcc, 0, v4
	v_cndmask_b32_e64 v18, 0, v18, s[16:17]
	v_cndmask_b32_e32 v18, v18, v8, vcc
	v_add_u32_e32 v27, 20, v18
	v_or_b32_e32 v24, 0x800000, v23
	v_lshlrev_b64 v[27:28], v27, -1
	v_add_u32_e32 v29, 19, v18
	v_cndmask_b32_e32 v23, v24, v23, vcc
	v_lshlrev_b64 v[44:45], v29, 1
	v_mov_b32_e32 v24, v41
	v_bfi_b32 v28, v28, 0, 0
	v_bfi_b32 v27, v27, 0, v23
	v_cmp_eq_u64_e64 s[16:17], v[27:28], v[44:45]
	v_lshrrev_b64 v[27:28], v18, v[23:24]
	v_mov_b32_e32 v29, v28
	v_mov_b32_e32 v28, v27
	s_and_saveexec_b64 s[76:77], s[16:17]
; %bb.1002:                             ;   in Loop: Header=BB2_738 Depth=2
	v_bfe_u32 v23, v27, 20, 1
	v_add_co_u32_e64 v23, s[16:17], v27, v23
	v_add_co_u32_e64 v28, s[16:17], -1, v23
; %bb.1003:                             ;   in Loop: Header=BB2_738 Depth=2
	s_or_b64 exec, exec, s[76:77]
	v_add_u32_e32 v4, 0xffffff81, v4
	v_cndmask_b32_e32 v4, v4, v54, vcc
	v_lshrrev_b32_e32 v23, 23, v27
	v_add3_u32 v23, v18, v4, v23
	v_add_u32_e32 v18, 6, v23
	v_and_b32_e32 v4, 0xfffff, v28
	v_add_u32_e32 v27, v4, v27
	v_mov_b32_e32 v28, v41
	v_cmp_ne_u32_e32 vcc, 0, v18
                                        ; implicit-def: $vgpr4
	s_and_saveexec_b64 s[16:17], vcc
	s_xor_b64 s[16:17], exec, s[16:17]
; %bb.1004:                             ;   in Loop: Header=BB2_738 Depth=2
	v_cmp_lt_u64_e32 vcc, s[58:59], v[27:28]
	v_add_u32_e32 v4, 7, v23
	v_cndmask_b32_e32 v4, v18, v4, vcc
	v_cndmask_b32_e64 v18, 0, 1, vcc
	v_lshrrev_b64 v[27:28], v18, v[27:28]
; %bb.1005:                             ;   in Loop: Header=BB2_738 Depth=2
	s_andn2_saveexec_b64 s[16:17], s[16:17]
; %bb.1006:                             ;   in Loop: Header=BB2_738 Depth=2
	v_bfe_u32 v4, v27, 23, 1
; %bb.1007:                             ;   in Loop: Header=BB2_738 Depth=2
	s_or_b64 exec, exec, s[16:17]
	v_lshrrev_b64 v[23:24], 20, v[27:28]
	v_cmp_gt_i32_e32 vcc, 16, v4
	v_cndmask_b32_e32 v24, 0, v24, vcc
	v_cndmask_b32_e32 v23, 7, v23, vcc
	v_cmp_eq_u32_e32 vcc, 0, v4
	v_min_i32_e32 v4, 15, v4
	v_cmp_eq_u64_e64 s[16:17], 0, v[23:24]
	v_lshlrev_b32_e32 v4, 3, v4
	v_and_b32_e32 v4, 0xf8, v4
	v_and_or_b32 v4, v23, 7, v4
	s_and_b64 s[16:17], vcc, s[16:17]
	v_cndmask_b32_e64 v4, v4, 0, s[16:17]
	v_or_b32_e32 v29, v4, v0
.LBB2_1008:                             ;   in Loop: Header=BB2_738 Depth=2
	s_or_b64 exec, exec, s[74:75]
                                        ; implicit-def: $vgpr0
.LBB2_1009:                             ;   in Loop: Header=BB2_738 Depth=2
	s_andn2_saveexec_b64 s[16:17], s[72:73]
; %bb.1010:                             ;   in Loop: Header=BB2_738 Depth=2
	v_or_b32_e32 v29, 0x7e, v0
; %bb.1011:                             ;   in Loop: Header=BB2_738 Depth=2
	s_or_b64 exec, exec, s[16:17]
                                        ; implicit-def: $vgpr4
.LBB2_1012:                             ;   in Loop: Header=BB2_738 Depth=2
	s_andn2_saveexec_b64 s[16:17], s[62:63]
; %bb.1013:                             ;   in Loop: Header=BB2_738 Depth=2
	v_or_b32_sdwa v29, v4, s37 dst_sel:DWORD dst_unused:UNUSED_PAD src0_sel:BYTE_3 src1_sel:DWORD
; %bb.1014:                             ;   in Loop: Header=BB2_738 Depth=2
	s_or_b64 exec, exec, s[16:17]
	v_cmp_lt_u32_e32 vcc, s39, v17
	v_mov_b32_e32 v4, 0
	v_mov_b32_e32 v18, 0
	s_and_saveexec_b64 s[16:17], vcc
	s_cbranch_execz .LBB2_1020
; %bb.1015:                             ;   in Loop: Header=BB2_738 Depth=2
	v_lshrrev_b32_e32 v0, 24, v17
	v_cmp_ne_u32_e32 vcc, s36, v0
	v_bfrev_b32_e32 v18, 1
	s_and_saveexec_b64 s[62:63], vcc
	s_cbranch_execz .LBB2_1019
; %bb.1016:                             ;   in Loop: Header=BB2_738 Depth=2
	v_bfe_u32 v17, v17, 24, 7
	v_cmp_ne_u32_e32 vcc, s37, v17
	v_mov_b32_e32 v18, 0x7f800001
	s_and_saveexec_b64 s[72:73], vcc
	s_cbranch_execz .LBB2_1018
; %bb.1017:                             ;   in Loop: Header=BB2_738 Depth=2
	v_and_b32_e32 v23, 7, v0
	v_lshrrev_b32_e32 v24, 3, v17
	v_cmp_gt_u32_e32 vcc, 8, v17
	v_ffbh_u32_e32 v17, v23
	v_min_u32_e32 v27, 32, v17
	v_subrev_u32_e32 v17, 28, v27
	v_lshlrev_b64 v[17:18], v17, v[0:1]
	v_sub_u32_e32 v18, 29, v27
	v_and_b32_e32 v17, 7, v17
	v_cndmask_b32_e32 v18, v24, v18, vcc
	v_cndmask_b32_e32 v17, v23, v17, vcc
	v_lshlrev_b32_e32 v0, 24, v0
	v_lshlrev_b32_e32 v17, 20, v17
	v_and_b32_e32 v0, 0x80000000, v0
	v_lshl_add_u32 v18, v18, 23, v7
	v_or3_b32 v18, v0, v18, v17
.LBB2_1018:                             ;   in Loop: Header=BB2_738 Depth=2
	s_or_b64 exec, exec, s[72:73]
.LBB2_1019:                             ;   in Loop: Header=BB2_738 Depth=2
	s_or_b64 exec, exec, s[62:63]
.LBB2_1020:                             ;   in Loop: Header=BB2_738 Depth=2
	s_or_b64 exec, exec, s[16:17]
	v_cmp_lt_u32_e32 vcc, s39, v40
	s_and_saveexec_b64 s[16:17], vcc
	s_cbranch_execz .LBB2_1026
; %bb.1021:                             ;   in Loop: Header=BB2_738 Depth=2
	v_lshrrev_b32_e32 v0, 24, v40
	v_cmp_ne_u32_e32 vcc, s36, v0
	v_bfrev_b32_e32 v4, 1
	s_and_saveexec_b64 s[62:63], vcc
	s_cbranch_execz .LBB2_1025
; %bb.1022:                             ;   in Loop: Header=BB2_738 Depth=2
	v_bfe_u32 v17, v40, 24, 7
	v_cmp_ne_u32_e32 vcc, s37, v17
	v_mov_b32_e32 v4, 0x7f800001
	s_and_saveexec_b64 s[72:73], vcc
	s_cbranch_execz .LBB2_1024
; %bb.1023:                             ;   in Loop: Header=BB2_738 Depth=2
	v_and_b32_e32 v4, 7, v0
	v_lshrrev_b32_e32 v27, 3, v17
	v_cmp_gt_u32_e32 vcc, 8, v17
	v_ffbh_u32_e32 v17, v4
	v_min_u32_e32 v17, 32, v17
	v_subrev_u32_e32 v23, 28, v17
	v_lshlrev_b64 v[23:24], v23, v[0:1]
	v_sub_u32_e32 v17, 29, v17
	v_and_b32_e32 v23, 7, v23
	v_cndmask_b32_e32 v17, v27, v17, vcc
	v_cndmask_b32_e32 v4, v4, v23, vcc
	v_lshlrev_b32_e32 v0, 24, v0
	v_lshlrev_b32_e32 v4, 20, v4
	v_and_b32_e32 v0, 0x80000000, v0
	v_lshl_add_u32 v17, v17, 23, v7
	v_or3_b32 v4, v0, v17, v4
.LBB2_1024:                             ;   in Loop: Header=BB2_738 Depth=2
	s_or_b64 exec, exec, s[72:73]
.LBB2_1025:                             ;   in Loop: Header=BB2_738 Depth=2
	s_or_b64 exec, exec, s[62:63]
.LBB2_1026:                             ;   in Loop: Header=BB2_738 Depth=2
	s_or_b64 exec, exec, s[16:17]
	v_add_f32_e32 v4, v18, v4
	v_and_b32_e32 v40, 0x7f800000, v4
	v_cmp_ne_u64_e32 vcc, s[46:47], v[40:41]
                                        ; implicit-def: $vgpr31
	s_and_saveexec_b64 s[16:17], vcc
	s_xor_b64 s[62:63], exec, s[16:17]
	s_cbranch_execz .LBB2_1040
; %bb.1027:                             ;   in Loop: Header=BB2_738 Depth=2
	v_and_b32_e32 v40, 0x7fffffff, v4
	v_cmp_gt_u64_e32 vcc, s[56:57], v[40:41]
	v_and_b32_sdwa v0, v4, s36 dst_sel:DWORD dst_unused:UNUSED_PAD src0_sel:BYTE_3 src1_sel:DWORD
                                        ; implicit-def: $vgpr31
	s_and_saveexec_b64 s[16:17], vcc
	s_xor_b64 s[72:73], exec, s[16:17]
	s_cbranch_execz .LBB2_1037
; %bb.1028:                             ;   in Loop: Header=BB2_738 Depth=2
	v_mov_b32_e32 v31, 0
	v_cmp_ne_u32_e32 vcc, 0, v4
	s_and_saveexec_b64 s[74:75], vcc
	s_cbranch_execz .LBB2_1036
; %bb.1029:                             ;   in Loop: Header=BB2_738 Depth=2
	v_and_b32_e32 v17, 0x7fffff, v4
	v_bfe_u32 v4, v4, 23, 8
	v_cmp_gt_u32_e64 s[16:17], s38, v4
	v_sub_u32_e32 v18, 0x79, v4
	v_cmp_eq_u32_e32 vcc, 0, v4
	v_cndmask_b32_e64 v18, 0, v18, s[16:17]
	v_or_b32_e32 v23, 0x800000, v17
	v_cndmask_b32_e32 v31, v18, v8, vcc
	v_cndmask_b32_e32 v40, v23, v17, vcc
	v_add_u32_e32 v17, 20, v31
	v_lshlrev_b64 v[17:18], v17, -1
	v_add_u32_e32 v23, 19, v31
	v_lshlrev_b64 v[23:24], v23, 1
	v_bfi_b32 v18, v18, 0, 0
	v_bfi_b32 v17, v17, 0, v40
	v_cmp_eq_u64_e64 s[16:17], v[17:18], v[23:24]
	v_lshrrev_b64 v[17:18], v31, v[40:41]
	v_mov_b32_e32 v28, v18
	v_mov_b32_e32 v27, v17
	s_and_saveexec_b64 s[76:77], s[16:17]
; %bb.1030:                             ;   in Loop: Header=BB2_738 Depth=2
	v_bfe_u32 v18, v17, 20, 1
	v_add_co_u32_e64 v18, s[16:17], v17, v18
	v_add_co_u32_e64 v27, s[16:17], -1, v18
; %bb.1031:                             ;   in Loop: Header=BB2_738 Depth=2
	s_or_b64 exec, exec, s[76:77]
	v_add_u32_e32 v4, 0xffffff81, v4
	v_cndmask_b32_e32 v4, v4, v54, vcc
	v_lshrrev_b32_e32 v18, 23, v17
	v_add3_u32 v24, v31, v4, v18
	v_add_u32_e32 v23, 6, v24
	v_and_b32_e32 v4, 0xfffff, v27
	v_add_u32_e32 v40, v4, v17
	v_cmp_ne_u32_e32 vcc, 0, v23
                                        ; implicit-def: $vgpr17_vgpr18
                                        ; implicit-def: $vgpr4
	s_and_saveexec_b64 s[16:17], vcc
	s_xor_b64 s[16:17], exec, s[16:17]
; %bb.1032:                             ;   in Loop: Header=BB2_738 Depth=2
	v_cmp_lt_u64_e32 vcc, s[58:59], v[40:41]
	v_add_u32_e32 v4, 7, v24
	v_cndmask_b32_e64 v17, 0, 1, vcc
	v_cndmask_b32_e32 v4, v23, v4, vcc
	v_lshrrev_b64 v[17:18], v17, v[40:41]
; %bb.1033:                             ;   in Loop: Header=BB2_738 Depth=2
	s_andn2_saveexec_b64 s[16:17], s[16:17]
; %bb.1034:                             ;   in Loop: Header=BB2_738 Depth=2
	v_mov_b32_e32 v17, v40
	v_bfe_u32 v4, v40, 23, 1
	v_mov_b32_e32 v18, v41
; %bb.1035:                             ;   in Loop: Header=BB2_738 Depth=2
	s_or_b64 exec, exec, s[16:17]
	v_lshrrev_b64 v[17:18], 20, v[17:18]
	v_cmp_gt_i32_e32 vcc, 16, v4
	v_cndmask_b32_e32 v18, 0, v18, vcc
	v_cndmask_b32_e32 v17, 7, v17, vcc
	v_cmp_eq_u32_e32 vcc, 0, v4
	v_min_i32_e32 v4, 15, v4
	v_cmp_eq_u64_e64 s[16:17], 0, v[17:18]
	v_lshlrev_b32_e32 v4, 3, v4
	v_and_b32_e32 v4, 0xf8, v4
	v_and_or_b32 v4, v17, 7, v4
	s_and_b64 s[16:17], vcc, s[16:17]
	v_cndmask_b32_e64 v4, v4, 0, s[16:17]
	v_or_b32_e32 v31, v4, v0
.LBB2_1036:                             ;   in Loop: Header=BB2_738 Depth=2
	s_or_b64 exec, exec, s[74:75]
                                        ; implicit-def: $vgpr0
.LBB2_1037:                             ;   in Loop: Header=BB2_738 Depth=2
	s_andn2_saveexec_b64 s[16:17], s[72:73]
; %bb.1038:                             ;   in Loop: Header=BB2_738 Depth=2
	v_or_b32_e32 v31, 0x7e, v0
; %bb.1039:                             ;   in Loop: Header=BB2_738 Depth=2
	s_or_b64 exec, exec, s[16:17]
                                        ; implicit-def: $vgpr4
.LBB2_1040:                             ;   in Loop: Header=BB2_738 Depth=2
	s_andn2_saveexec_b64 s[16:17], s[62:63]
; %bb.1041:                             ;   in Loop: Header=BB2_738 Depth=2
	v_or_b32_sdwa v31, v4, s37 dst_sel:DWORD dst_unused:UNUSED_PAD src0_sel:BYTE_3 src1_sel:DWORD
; %bb.1042:                             ;   in Loop: Header=BB2_738 Depth=2
	s_or_b64 exec, exec, s[16:17]
	v_cmp_ne_u16_sdwa s[62:63], v19, v41 src0_sel:BYTE_0 src1_sel:DWORD
	v_mov_b32_e32 v0, 0
	v_mov_b32_e32 v4, 0
	s_and_saveexec_b64 s[16:17], s[62:63]
	s_cbranch_execz .LBB2_1048
; %bb.1043:                             ;   in Loop: Header=BB2_738 Depth=2
	v_cmp_ne_u16_sdwa s[72:73], v19, s36 src0_sel:BYTE_0 src1_sel:DWORD
	v_bfrev_b32_e32 v4, 1
	s_and_saveexec_b64 s[62:63], s[72:73]
	s_cbranch_execz .LBB2_1047
; %bb.1044:                             ;   in Loop: Header=BB2_738 Depth=2
	v_and_b32_e32 v17, 0x7f, v19
	v_cmp_ne_u32_e32 vcc, s37, v17
	v_mov_b32_e32 v4, 0x7f800001
	s_and_saveexec_b64 s[72:73], vcc
	s_cbranch_execz .LBB2_1046
; %bb.1045:                             ;   in Loop: Header=BB2_738 Depth=2
	v_and_b32_e32 v4, 7, v19
	v_ffbh_u32_e32 v4, v4
	v_min_u32_e32 v4, 32, v4
	v_lshrrev_b32_e32 v18, 3, v17
	v_cmp_gt_u32_e32 vcc, 8, v17
	v_subrev_u32_e32 v17, 28, v4
	v_sub_u32_e32 v4, 29, v4
	v_cndmask_b32_e32 v17, 0, v17, vcc
	v_cndmask_b32_e32 v4, v18, v4, vcc
	v_lshlrev_b64 v[17:18], v17, v[19:20]
	v_lshlrev_b32_e32 v18, 24, v19
	v_lshlrev_b32_e32 v17, 20, v17
	v_and_b32_e32 v17, 0x700000, v17
	v_and_b32_e32 v18, 0x80000000, v18
	v_lshl_add_u32 v4, v4, 23, v7
	v_or3_b32 v4, v18, v4, v17
.LBB2_1046:                             ;   in Loop: Header=BB2_738 Depth=2
	s_or_b64 exec, exec, s[72:73]
.LBB2_1047:                             ;   in Loop: Header=BB2_738 Depth=2
	s_or_b64 exec, exec, s[62:63]
.LBB2_1048:                             ;   in Loop: Header=BB2_738 Depth=2
	s_or_b64 exec, exec, s[16:17]
	v_lshlrev_b32_e32 v17, 24, v32
	v_lshlrev_b32_e32 v18, 16, v30
	v_lshl_or_b32 v20, v26, 8, v10
	v_or3_b32 v40, v18, v17, v20
	v_cmp_ne_u32_e32 vcc, 0, v10
	s_and_saveexec_b64 s[16:17], vcc
	s_cbranch_execz .LBB2_1054
; %bb.1049:                             ;   in Loop: Header=BB2_738 Depth=2
	v_cmp_ne_u32_e32 vcc, s36, v10
	v_bfrev_b32_e32 v0, 1
	s_and_saveexec_b64 s[62:63], vcc
	s_cbranch_execz .LBB2_1053
; %bb.1050:                             ;   in Loop: Header=BB2_738 Depth=2
	v_and_b32_e32 v17, 0x7f, v10
	v_cmp_ne_u32_e32 vcc, s37, v17
	v_mov_b32_e32 v0, 0x7f800001
	s_and_saveexec_b64 s[72:73], vcc
	s_cbranch_execz .LBB2_1052
; %bb.1051:                             ;   in Loop: Header=BB2_738 Depth=2
	v_and_b32_e32 v0, 7, v10
	v_ffbh_u32_e32 v0, v0
	v_min_u32_e32 v0, 32, v0
	v_lshrrev_b32_e32 v10, 3, v17
	v_cmp_gt_u32_e32 vcc, 8, v17
	v_subrev_u32_e32 v17, 28, v0
	v_sub_u32_e32 v0, 29, v0
	v_cndmask_b32_e32 v0, v10, v0, vcc
	v_cndmask_b32_e32 v10, 0, v17, vcc
	v_lshlrev_b64 v[17:18], v10, v[40:41]
	v_lshl_add_u32 v0, v0, 23, v7
	v_lshlrev_b32_e32 v10, 20, v17
	v_lshlrev_b32_e32 v17, 24, v40
	v_and_b32_e32 v10, 0x700000, v10
	v_and_b32_e32 v17, 0x80000000, v17
	v_or3_b32 v0, v17, v0, v10
.LBB2_1052:                             ;   in Loop: Header=BB2_738 Depth=2
	s_or_b64 exec, exec, s[72:73]
.LBB2_1053:                             ;   in Loop: Header=BB2_738 Depth=2
	s_or_b64 exec, exec, s[62:63]
.LBB2_1054:                             ;   in Loop: Header=BB2_738 Depth=2
	s_or_b64 exec, exec, s[16:17]
	v_add_f32_e32 v10, v4, v0
	v_and_b32_e32 v17, 0x7f800000, v10
	v_mov_b32_e32 v18, v41
	v_cmp_ne_u64_e32 vcc, s[46:47], v[17:18]
                                        ; implicit-def: $vgpr4
	s_and_saveexec_b64 s[16:17], vcc
	s_xor_b64 s[62:63], exec, s[16:17]
	s_cbranch_execz .LBB2_1068
; %bb.1055:                             ;   in Loop: Header=BB2_738 Depth=2
	v_and_b32_e32 v17, 0x7fffffff, v10
	v_mov_b32_e32 v18, v41
	v_cmp_gt_u64_e32 vcc, s[56:57], v[17:18]
	v_and_b32_sdwa v0, v10, s36 dst_sel:DWORD dst_unused:UNUSED_PAD src0_sel:BYTE_3 src1_sel:DWORD
                                        ; implicit-def: $vgpr4
	s_and_saveexec_b64 s[16:17], vcc
	s_xor_b64 s[72:73], exec, s[16:17]
	s_cbranch_execz .LBB2_1065
; %bb.1056:                             ;   in Loop: Header=BB2_738 Depth=2
	v_mov_b32_e32 v4, 0
	v_cmp_ne_u32_e32 vcc, 0, v10
	s_and_saveexec_b64 s[74:75], vcc
	s_cbranch_execz .LBB2_1064
; %bb.1057:                             ;   in Loop: Header=BB2_738 Depth=2
	v_bfe_u32 v4, v10, 23, 8
	v_and_b32_e32 v17, 0x7fffff, v10
	v_cmp_gt_u32_e64 s[16:17], s38, v4
	v_sub_u32_e32 v10, 0x79, v4
	v_cmp_eq_u32_e32 vcc, 0, v4
	v_cndmask_b32_e64 v10, 0, v10, s[16:17]
	v_cndmask_b32_e32 v10, v10, v8, vcc
	v_add_u32_e32 v23, 20, v10
	v_or_b32_e32 v18, 0x800000, v17
	v_lshlrev_b64 v[23:24], v23, -1
	v_cndmask_b32_e32 v17, v18, v17, vcc
	v_mov_b32_e32 v18, v41
	v_add_u32_e32 v26, 19, v10
	v_bfi_b32 v23, v23, 0, v17
	v_lshlrev_b64 v[26:27], v26, 1
	v_lshrrev_b64 v[17:18], v10, v[17:18]
	v_bfi_b32 v24, v24, 0, 0
	v_cmp_eq_u64_e64 s[16:17], v[23:24], v[26:27]
	v_mov_b32_e32 v28, v18
	v_mov_b32_e32 v27, v17
	s_and_saveexec_b64 s[76:77], s[16:17]
; %bb.1058:                             ;   in Loop: Header=BB2_738 Depth=2
	v_bfe_u32 v18, v17, 20, 1
	v_add_co_u32_e64 v18, s[16:17], v17, v18
	v_add_co_u32_e64 v27, s[16:17], -1, v18
; %bb.1059:                             ;   in Loop: Header=BB2_738 Depth=2
	s_or_b64 exec, exec, s[76:77]
	v_add_u32_e32 v4, 0xffffff81, v4
	v_cndmask_b32_e32 v4, v4, v54, vcc
	v_lshrrev_b32_e32 v18, 23, v17
	v_add3_u32 v23, v10, v4, v18
	v_add_u32_e32 v10, 6, v23
	v_and_b32_e32 v4, 0xfffff, v27
	v_add_u32_e32 v17, v4, v17
	v_mov_b32_e32 v18, v41
	v_cmp_ne_u32_e32 vcc, 0, v10
                                        ; implicit-def: $vgpr4
	s_and_saveexec_b64 s[16:17], vcc
	s_xor_b64 s[16:17], exec, s[16:17]
; %bb.1060:                             ;   in Loop: Header=BB2_738 Depth=2
	v_cmp_lt_u64_e32 vcc, s[58:59], v[17:18]
	v_add_u32_e32 v4, 7, v23
	v_cndmask_b32_e32 v4, v10, v4, vcc
	v_cndmask_b32_e64 v10, 0, 1, vcc
	v_lshrrev_b64 v[17:18], v10, v[17:18]
; %bb.1061:                             ;   in Loop: Header=BB2_738 Depth=2
	s_andn2_saveexec_b64 s[16:17], s[16:17]
; %bb.1062:                             ;   in Loop: Header=BB2_738 Depth=2
	v_bfe_u32 v4, v17, 23, 1
; %bb.1063:                             ;   in Loop: Header=BB2_738 Depth=2
	s_or_b64 exec, exec, s[16:17]
	v_lshrrev_b64 v[17:18], 20, v[17:18]
	v_cmp_gt_i32_e32 vcc, 16, v4
	v_cndmask_b32_e32 v18, 0, v18, vcc
	v_cndmask_b32_e32 v17, 7, v17, vcc
	v_cmp_eq_u32_e32 vcc, 0, v4
	v_min_i32_e32 v4, 15, v4
	v_cmp_eq_u64_e64 s[16:17], 0, v[17:18]
	v_lshlrev_b32_e32 v4, 3, v4
	v_and_b32_e32 v4, 0xf8, v4
	v_and_or_b32 v4, v17, 7, v4
	s_and_b64 s[16:17], vcc, s[16:17]
	v_cndmask_b32_e64 v4, v4, 0, s[16:17]
	v_or_b32_e32 v4, v4, v0
.LBB2_1064:                             ;   in Loop: Header=BB2_738 Depth=2
	s_or_b64 exec, exec, s[74:75]
                                        ; implicit-def: $vgpr0
.LBB2_1065:                             ;   in Loop: Header=BB2_738 Depth=2
	s_andn2_saveexec_b64 s[16:17], s[72:73]
; %bb.1066:                             ;   in Loop: Header=BB2_738 Depth=2
	v_or_b32_e32 v4, 0x7e, v0
; %bb.1067:                             ;   in Loop: Header=BB2_738 Depth=2
	s_or_b64 exec, exec, s[16:17]
                                        ; implicit-def: $vgpr10
.LBB2_1068:                             ;   in Loop: Header=BB2_738 Depth=2
	s_andn2_saveexec_b64 s[16:17], s[62:63]
; %bb.1069:                             ;   in Loop: Header=BB2_738 Depth=2
	v_or_b32_sdwa v4, v10, s37 dst_sel:DWORD dst_unused:UNUSED_PAD src0_sel:BYTE_3 src1_sel:DWORD
; %bb.1070:                             ;   in Loop: Header=BB2_738 Depth=2
	s_or_b64 exec, exec, s[16:17]
	v_lshrrev_b16_e32 v0, 8, v19
	v_cmp_ne_u16_e32 vcc, 0, v0
	v_mov_b32_e32 v10, 0
	v_mov_b32_e32 v17, 0
	s_and_saveexec_b64 s[16:17], vcc
	s_cbranch_execz .LBB2_1076
; %bb.1071:                             ;   in Loop: Header=BB2_738 Depth=2
	v_cmp_ne_u16_e32 vcc, s36, v0
	v_bfrev_b32_e32 v17, 1
	s_and_saveexec_b64 s[62:63], vcc
	s_cbranch_execz .LBB2_1075
; %bb.1072:                             ;   in Loop: Header=BB2_738 Depth=2
	v_and_b32_e32 v18, 0x7f, v0
	v_cmp_ne_u32_e32 vcc, s37, v18
	v_mov_b32_e32 v17, 0x7f800001
	s_and_saveexec_b64 s[72:73], vcc
	s_cbranch_execz .LBB2_1074
; %bb.1073:                             ;   in Loop: Header=BB2_738 Depth=2
	v_and_b32_e32 v23, 7, v0
	v_ffbh_u32_e32 v17, v23
	v_min_u32_e32 v26, 32, v17
	v_subrev_u32_e32 v17, 28, v26
	v_lshrrev_b32_e32 v24, 3, v18
	v_cmp_gt_u32_e32 vcc, 8, v18
	v_lshlrev_b64 v[17:18], v17, v[0:1]
	v_sub_u32_e32 v0, 29, v26
	v_and_b32_e32 v17, 7, v17
	v_cndmask_b32_e32 v0, v24, v0, vcc
	v_cndmask_b32_e32 v17, v23, v17, vcc
	v_lshlrev_b32_e32 v18, 16, v19
	v_lshlrev_b32_e32 v17, 20, v17
	v_and_b32_e32 v18, 0x80000000, v18
	v_lshl_add_u32 v0, v0, 23, v7
	v_or3_b32 v17, v18, v0, v17
.LBB2_1074:                             ;   in Loop: Header=BB2_738 Depth=2
	s_or_b64 exec, exec, s[72:73]
.LBB2_1075:                             ;   in Loop: Header=BB2_738 Depth=2
	s_or_b64 exec, exec, s[62:63]
.LBB2_1076:                             ;   in Loop: Header=BB2_738 Depth=2
	s_or_b64 exec, exec, s[16:17]
	v_lshrrev_b16_e32 v0, 8, v20
	v_cmp_ne_u16_e32 vcc, 0, v0
	s_and_saveexec_b64 s[16:17], vcc
	s_cbranch_execz .LBB2_1082
; %bb.1077:                             ;   in Loop: Header=BB2_738 Depth=2
	v_cmp_ne_u16_e32 vcc, s36, v0
	v_bfrev_b32_e32 v10, 1
	s_and_saveexec_b64 s[62:63], vcc
	s_cbranch_execz .LBB2_1081
; %bb.1078:                             ;   in Loop: Header=BB2_738 Depth=2
	v_and_b32_e32 v18, 0x7f, v0
	v_cmp_ne_u32_e32 vcc, s37, v18
	v_mov_b32_e32 v10, 0x7f800001
	s_and_saveexec_b64 s[72:73], vcc
	s_cbranch_execz .LBB2_1080
; %bb.1079:                             ;   in Loop: Header=BB2_738 Depth=2
	v_and_b32_e32 v10, 7, v0
	v_lshrrev_b32_e32 v26, 3, v18
	v_cmp_gt_u32_e32 vcc, 8, v18
	v_ffbh_u32_e32 v18, v10
	v_min_u32_e32 v18, 32, v18
	v_subrev_u32_e32 v23, 28, v18
	v_lshlrev_b64 v[23:24], v23, v[0:1]
	v_sub_u32_e32 v0, 29, v18
	v_and_b32_e32 v18, 7, v23
	v_cndmask_b32_e32 v0, v26, v0, vcc
	v_cndmask_b32_e32 v10, v10, v18, vcc
	v_lshlrev_b32_e32 v18, 16, v20
	v_lshlrev_b32_e32 v10, 20, v10
	v_and_b32_e32 v18, 0x80000000, v18
	v_lshl_add_u32 v0, v0, 23, v7
	v_or3_b32 v10, v18, v0, v10
.LBB2_1080:                             ;   in Loop: Header=BB2_738 Depth=2
	s_or_b64 exec, exec, s[72:73]
.LBB2_1081:                             ;   in Loop: Header=BB2_738 Depth=2
	s_or_b64 exec, exec, s[62:63]
.LBB2_1082:                             ;   in Loop: Header=BB2_738 Depth=2
	s_or_b64 exec, exec, s[16:17]
	v_add_f32_e32 v17, v17, v10
	v_and_b32_e32 v23, 0x7f800000, v17
	v_mov_b32_e32 v24, v41
	v_cmp_ne_u64_e32 vcc, s[46:47], v[23:24]
                                        ; implicit-def: $vgpr10
	s_and_saveexec_b64 s[16:17], vcc
	s_xor_b64 s[62:63], exec, s[16:17]
	s_cbranch_execz .LBB2_1096
; %bb.1083:                             ;   in Loop: Header=BB2_738 Depth=2
	v_and_b32_e32 v23, 0x7fffffff, v17
	v_mov_b32_e32 v24, v41
	v_cmp_gt_u64_e32 vcc, s[56:57], v[23:24]
	v_and_b32_sdwa v0, v17, s36 dst_sel:DWORD dst_unused:UNUSED_PAD src0_sel:BYTE_3 src1_sel:DWORD
                                        ; implicit-def: $vgpr10
	s_and_saveexec_b64 s[16:17], vcc
	s_xor_b64 s[72:73], exec, s[16:17]
	s_cbranch_execz .LBB2_1093
; %bb.1084:                             ;   in Loop: Header=BB2_738 Depth=2
	v_mov_b32_e32 v10, 0
	v_cmp_ne_u32_e32 vcc, 0, v17
	s_and_saveexec_b64 s[74:75], vcc
	s_cbranch_execz .LBB2_1092
; %bb.1085:                             ;   in Loop: Header=BB2_738 Depth=2
	v_bfe_u32 v10, v17, 23, 8
	v_and_b32_e32 v18, 0x7fffff, v17
	v_cmp_gt_u32_e64 s[16:17], s38, v10
	v_sub_u32_e32 v17, 0x79, v10
	v_cmp_eq_u32_e32 vcc, 0, v10
	v_cndmask_b32_e64 v17, 0, v17, s[16:17]
	v_or_b32_e32 v23, 0x800000, v18
	v_cndmask_b32_e32 v20, v17, v8, vcc
	v_cndmask_b32_e32 v17, v23, v18, vcc
	v_add_u32_e32 v23, 20, v20
	v_lshlrev_b64 v[23:24], v23, -1
	v_mov_b32_e32 v18, v41
	v_add_u32_e32 v26, 19, v20
	v_bfi_b32 v23, v23, 0, v17
	v_lshlrev_b64 v[26:27], v26, 1
	v_lshrrev_b64 v[17:18], v20, v[17:18]
	v_bfi_b32 v24, v24, 0, 0
	v_cmp_eq_u64_e64 s[16:17], v[23:24], v[26:27]
	v_mov_b32_e32 v28, v18
	v_mov_b32_e32 v27, v17
	s_and_saveexec_b64 s[76:77], s[16:17]
; %bb.1086:                             ;   in Loop: Header=BB2_738 Depth=2
	v_bfe_u32 v18, v17, 20, 1
	v_add_co_u32_e64 v18, s[16:17], v17, v18
	v_add_co_u32_e64 v27, s[16:17], -1, v18
; %bb.1087:                             ;   in Loop: Header=BB2_738 Depth=2
	s_or_b64 exec, exec, s[76:77]
	v_add_u32_e32 v10, 0xffffff81, v10
	v_cndmask_b32_e32 v10, v10, v54, vcc
	v_lshrrev_b32_e32 v18, 23, v17
	v_add3_u32 v23, v20, v10, v18
	v_add_u32_e32 v20, 6, v23
	v_and_b32_e32 v10, 0xfffff, v27
	v_add_u32_e32 v17, v10, v17
	v_mov_b32_e32 v18, v41
	v_cmp_ne_u32_e32 vcc, 0, v20
                                        ; implicit-def: $vgpr10
	s_and_saveexec_b64 s[16:17], vcc
	s_xor_b64 s[16:17], exec, s[16:17]
; %bb.1088:                             ;   in Loop: Header=BB2_738 Depth=2
	v_cmp_lt_u64_e32 vcc, s[58:59], v[17:18]
	v_add_u32_e32 v10, 7, v23
	v_cndmask_b32_e32 v10, v20, v10, vcc
	v_cndmask_b32_e64 v20, 0, 1, vcc
	v_lshrrev_b64 v[17:18], v20, v[17:18]
; %bb.1089:                             ;   in Loop: Header=BB2_738 Depth=2
	s_andn2_saveexec_b64 s[16:17], s[16:17]
; %bb.1090:                             ;   in Loop: Header=BB2_738 Depth=2
	v_bfe_u32 v10, v17, 23, 1
; %bb.1091:                             ;   in Loop: Header=BB2_738 Depth=2
	s_or_b64 exec, exec, s[16:17]
	v_lshrrev_b64 v[17:18], 20, v[17:18]
	v_cmp_gt_i32_e32 vcc, 16, v10
	v_cndmask_b32_e32 v18, 0, v18, vcc
	v_cndmask_b32_e32 v17, 7, v17, vcc
	v_cmp_eq_u32_e32 vcc, 0, v10
	v_min_i32_e32 v10, 15, v10
	v_cmp_eq_u64_e64 s[16:17], 0, v[17:18]
	v_lshlrev_b32_e32 v10, 3, v10
	v_and_b32_e32 v10, 0xf8, v10
	v_and_or_b32 v10, v17, 7, v10
	s_and_b64 s[16:17], vcc, s[16:17]
	v_cndmask_b32_e64 v10, v10, 0, s[16:17]
	v_or_b32_e32 v10, v10, v0
.LBB2_1092:                             ;   in Loop: Header=BB2_738 Depth=2
	s_or_b64 exec, exec, s[74:75]
                                        ; implicit-def: $vgpr0
.LBB2_1093:                             ;   in Loop: Header=BB2_738 Depth=2
	s_andn2_saveexec_b64 s[16:17], s[72:73]
; %bb.1094:                             ;   in Loop: Header=BB2_738 Depth=2
	v_or_b32_e32 v10, 0x7e, v0
; %bb.1095:                             ;   in Loop: Header=BB2_738 Depth=2
	s_or_b64 exec, exec, s[16:17]
                                        ; implicit-def: $vgpr17
.LBB2_1096:                             ;   in Loop: Header=BB2_738 Depth=2
	s_andn2_saveexec_b64 s[16:17], s[62:63]
; %bb.1097:                             ;   in Loop: Header=BB2_738 Depth=2
	v_or_b32_sdwa v10, v17, s37 dst_sel:DWORD dst_unused:UNUSED_PAD src0_sel:BYTE_3 src1_sel:DWORD
; %bb.1098:                             ;   in Loop: Header=BB2_738 Depth=2
	s_or_b64 exec, exec, s[16:17]
	v_lshrrev_b32_e32 v0, 16, v19
	v_cmp_ne_u16_sdwa s[62:63], v0, v41 src0_sel:BYTE_0 src1_sel:DWORD
	v_mov_b32_e32 v17, 0
	v_mov_b32_e32 v18, 0
	s_and_saveexec_b64 s[16:17], s[62:63]
	s_cbranch_execz .LBB2_1104
; %bb.1099:                             ;   in Loop: Header=BB2_738 Depth=2
	v_cmp_ne_u16_sdwa s[72:73], v0, s36 src0_sel:BYTE_0 src1_sel:DWORD
	v_bfrev_b32_e32 v18, 1
	s_and_saveexec_b64 s[62:63], s[72:73]
	s_cbranch_execz .LBB2_1103
; %bb.1100:                             ;   in Loop: Header=BB2_738 Depth=2
	v_bfe_u32 v20, v19, 16, 7
	v_cmp_ne_u32_e32 vcc, s37, v20
	v_mov_b32_e32 v18, 0x7f800001
	s_and_saveexec_b64 s[72:73], vcc
	s_cbranch_execz .LBB2_1102
; %bb.1101:                             ;   in Loop: Header=BB2_738 Depth=2
	v_and_b32_e32 v18, 7, v0
	v_lshrrev_b32_e32 v26, 3, v20
	v_cmp_gt_u32_e32 vcc, 8, v20
	v_ffbh_u32_e32 v20, v18
	v_min_u32_e32 v20, 32, v20
	v_subrev_u32_e32 v23, 28, v20
	v_lshlrev_b64 v[23:24], v23, v[0:1]
	v_sub_u32_e32 v20, 29, v20
	v_and_b32_e32 v23, 7, v23
	v_cndmask_b32_e32 v20, v26, v20, vcc
	v_cndmask_b32_e32 v18, v18, v23, vcc
	v_lshlrev_b32_e32 v0, 24, v0
	v_lshlrev_b32_e32 v18, 20, v18
	v_and_b32_e32 v0, 0x80000000, v0
	v_lshl_add_u32 v20, v20, 23, v7
	v_or3_b32 v18, v0, v20, v18
.LBB2_1102:                             ;   in Loop: Header=BB2_738 Depth=2
	s_or_b64 exec, exec, s[72:73]
.LBB2_1103:                             ;   in Loop: Header=BB2_738 Depth=2
	s_or_b64 exec, exec, s[62:63]
.LBB2_1104:                             ;   in Loop: Header=BB2_738 Depth=2
	s_or_b64 exec, exec, s[16:17]
	v_lshrrev_b32_e32 v0, 16, v40
	v_cmp_ne_u16_sdwa s[62:63], v0, v41 src0_sel:BYTE_0 src1_sel:DWORD
	s_and_saveexec_b64 s[16:17], s[62:63]
	s_cbranch_execz .LBB2_1110
; %bb.1105:                             ;   in Loop: Header=BB2_738 Depth=2
	v_cmp_ne_u16_sdwa s[72:73], v0, s36 src0_sel:BYTE_0 src1_sel:DWORD
	v_bfrev_b32_e32 v17, 1
	s_and_saveexec_b64 s[62:63], s[72:73]
	s_cbranch_execz .LBB2_1109
; %bb.1106:                             ;   in Loop: Header=BB2_738 Depth=2
	v_bfe_u32 v20, v40, 16, 7
	v_cmp_ne_u32_e32 vcc, s37, v20
	v_mov_b32_e32 v17, 0x7f800001
	s_and_saveexec_b64 s[72:73], vcc
	s_cbranch_execz .LBB2_1108
; %bb.1107:                             ;   in Loop: Header=BB2_738 Depth=2
	v_and_b32_e32 v17, 7, v0
	v_lshrrev_b32_e32 v26, 3, v20
	v_cmp_gt_u32_e32 vcc, 8, v20
	v_ffbh_u32_e32 v20, v17
	v_min_u32_e32 v20, 32, v20
	v_subrev_u32_e32 v23, 28, v20
	v_lshlrev_b64 v[23:24], v23, v[0:1]
	v_sub_u32_e32 v0, 29, v20
	v_and_b32_e32 v20, 7, v23
	v_cndmask_b32_e32 v0, v26, v0, vcc
	v_cndmask_b32_e32 v17, v17, v20, vcc
	v_lshlrev_b32_e32 v20, 8, v40
	v_lshlrev_b32_e32 v17, 20, v17
	v_and_b32_e32 v20, 0x80000000, v20
	v_lshl_add_u32 v0, v0, 23, v7
	v_or3_b32 v17, v20, v0, v17
.LBB2_1108:                             ;   in Loop: Header=BB2_738 Depth=2
	s_or_b64 exec, exec, s[72:73]
.LBB2_1109:                             ;   in Loop: Header=BB2_738 Depth=2
	s_or_b64 exec, exec, s[62:63]
.LBB2_1110:                             ;   in Loop: Header=BB2_738 Depth=2
	s_or_b64 exec, exec, s[16:17]
	v_add_f32_e32 v17, v18, v17
	v_and_b32_e32 v23, 0x7f800000, v17
	v_mov_b32_e32 v24, v41
	v_cmp_ne_u64_e32 vcc, s[46:47], v[23:24]
                                        ; implicit-def: $vgpr20
	s_and_saveexec_b64 s[16:17], vcc
	s_xor_b64 s[62:63], exec, s[16:17]
	s_cbranch_execz .LBB2_1124
; %bb.1111:                             ;   in Loop: Header=BB2_738 Depth=2
	v_and_b32_e32 v23, 0x7fffffff, v17
	v_mov_b32_e32 v24, v41
	v_cmp_gt_u64_e32 vcc, s[56:57], v[23:24]
	v_and_b32_sdwa v0, v17, s36 dst_sel:DWORD dst_unused:UNUSED_PAD src0_sel:BYTE_3 src1_sel:DWORD
                                        ; implicit-def: $vgpr20
	s_and_saveexec_b64 s[16:17], vcc
	s_xor_b64 s[72:73], exec, s[16:17]
	s_cbranch_execz .LBB2_1121
; %bb.1112:                             ;   in Loop: Header=BB2_738 Depth=2
	v_mov_b32_e32 v20, 0
	v_cmp_ne_u32_e32 vcc, 0, v17
	s_and_saveexec_b64 s[74:75], vcc
	s_cbranch_execz .LBB2_1120
; %bb.1113:                             ;   in Loop: Header=BB2_738 Depth=2
	v_bfe_u32 v20, v17, 23, 8
	v_and_b32_e32 v18, 0x7fffff, v17
	v_cmp_gt_u32_e64 s[16:17], s38, v20
	v_sub_u32_e32 v17, 0x79, v20
	v_cmp_eq_u32_e32 vcc, 0, v20
	v_cndmask_b32_e64 v17, 0, v17, s[16:17]
	v_or_b32_e32 v23, 0x800000, v18
	v_cndmask_b32_e32 v26, v17, v8, vcc
	v_cndmask_b32_e32 v17, v23, v18, vcc
	v_add_u32_e32 v23, 20, v26
	v_lshlrev_b64 v[23:24], v23, -1
	v_mov_b32_e32 v18, v41
	v_add_u32_e32 v27, 19, v26
	v_bfi_b32 v23, v23, 0, v17
	v_lshlrev_b64 v[27:28], v27, 1
	v_lshrrev_b64 v[17:18], v26, v[17:18]
	v_bfi_b32 v24, v24, 0, 0
	v_cmp_eq_u64_e64 s[16:17], v[23:24], v[27:28]
	v_mov_b32_e32 v28, v18
	v_mov_b32_e32 v27, v17
	s_and_saveexec_b64 s[76:77], s[16:17]
; %bb.1114:                             ;   in Loop: Header=BB2_738 Depth=2
	v_bfe_u32 v18, v17, 20, 1
	v_add_co_u32_e64 v18, s[16:17], v17, v18
	v_add_co_u32_e64 v27, s[16:17], -1, v18
; %bb.1115:                             ;   in Loop: Header=BB2_738 Depth=2
	s_or_b64 exec, exec, s[76:77]
	v_add_u32_e32 v18, 0xffffff81, v20
	v_cndmask_b32_e32 v18, v18, v54, vcc
	v_lshrrev_b32_e32 v20, 23, v17
	v_add3_u32 v24, v26, v18, v20
	v_add_u32_e32 v23, 6, v24
	v_and_b32_e32 v18, 0xfffff, v27
	v_add_u32_e32 v17, v18, v17
	v_mov_b32_e32 v18, v41
	v_cmp_ne_u32_e32 vcc, 0, v23
                                        ; implicit-def: $vgpr20
	s_and_saveexec_b64 s[16:17], vcc
	s_xor_b64 s[16:17], exec, s[16:17]
; %bb.1116:                             ;   in Loop: Header=BB2_738 Depth=2
	v_cmp_lt_u64_e32 vcc, s[58:59], v[17:18]
	v_add_u32_e32 v20, 7, v24
	v_cndmask_b32_e32 v20, v23, v20, vcc
	v_cndmask_b32_e64 v23, 0, 1, vcc
	v_lshrrev_b64 v[17:18], v23, v[17:18]
; %bb.1117:                             ;   in Loop: Header=BB2_738 Depth=2
	s_andn2_saveexec_b64 s[16:17], s[16:17]
; %bb.1118:                             ;   in Loop: Header=BB2_738 Depth=2
	v_bfe_u32 v20, v17, 23, 1
; %bb.1119:                             ;   in Loop: Header=BB2_738 Depth=2
	s_or_b64 exec, exec, s[16:17]
	v_lshrrev_b64 v[17:18], 20, v[17:18]
	v_cmp_gt_i32_e32 vcc, 16, v20
	v_cndmask_b32_e32 v18, 0, v18, vcc
	v_cndmask_b32_e32 v17, 7, v17, vcc
	v_cmp_eq_u64_e64 s[16:17], 0, v[17:18]
	v_min_i32_e32 v18, 15, v20
	v_lshlrev_b32_e32 v18, 3, v18
	v_cmp_eq_u32_e32 vcc, 0, v20
	v_and_b32_e32 v18, 0xf8, v18
	v_and_or_b32 v17, v17, 7, v18
	s_and_b64 s[16:17], vcc, s[16:17]
	v_cndmask_b32_e64 v17, v17, 0, s[16:17]
	v_or_b32_e32 v20, v17, v0
.LBB2_1120:                             ;   in Loop: Header=BB2_738 Depth=2
	s_or_b64 exec, exec, s[74:75]
                                        ; implicit-def: $vgpr0
.LBB2_1121:                             ;   in Loop: Header=BB2_738 Depth=2
	s_andn2_saveexec_b64 s[16:17], s[72:73]
; %bb.1122:                             ;   in Loop: Header=BB2_738 Depth=2
	v_or_b32_e32 v20, 0x7e, v0
; %bb.1123:                             ;   in Loop: Header=BB2_738 Depth=2
	s_or_b64 exec, exec, s[16:17]
                                        ; implicit-def: $vgpr17
.LBB2_1124:                             ;   in Loop: Header=BB2_738 Depth=2
	s_andn2_saveexec_b64 s[16:17], s[62:63]
; %bb.1125:                             ;   in Loop: Header=BB2_738 Depth=2
	v_or_b32_sdwa v20, v17, s37 dst_sel:DWORD dst_unused:UNUSED_PAD src0_sel:BYTE_3 src1_sel:DWORD
; %bb.1126:                             ;   in Loop: Header=BB2_738 Depth=2
	s_or_b64 exec, exec, s[16:17]
	v_and_b32_e32 v17, 0xff000000, v19
	v_mov_b32_e32 v18, v41
	v_cmp_ne_u64_e32 vcc, 0, v[17:18]
	v_mov_b32_e32 v17, 0
	v_mov_b32_e32 v18, 0
	s_and_saveexec_b64 s[16:17], vcc
	s_cbranch_execz .LBB2_1132
; %bb.1127:                             ;   in Loop: Header=BB2_738 Depth=2
	v_lshrrev_b32_e32 v0, 24, v19
	v_cmp_ne_u32_e32 vcc, s36, v0
	v_bfrev_b32_e32 v18, 1
	s_and_saveexec_b64 s[62:63], vcc
	s_cbranch_execz .LBB2_1131
; %bb.1128:                             ;   in Loop: Header=BB2_738 Depth=2
	v_bfe_u32 v19, v19, 24, 7
	v_cmp_ne_u32_e32 vcc, s37, v19
	v_mov_b32_e32 v18, 0x7f800001
	s_and_saveexec_b64 s[72:73], vcc
	s_cbranch_execz .LBB2_1130
; %bb.1129:                             ;   in Loop: Header=BB2_738 Depth=2
	v_and_b32_e32 v23, 7, v0
	v_ffbh_u32_e32 v18, v23
	v_min_u32_e32 v26, 32, v18
	v_subrev_u32_e32 v18, 28, v26
	v_lshrrev_b32_e32 v24, 3, v19
	v_cmp_gt_u32_e32 vcc, 8, v19
	v_lshlrev_b64 v[18:19], v18, v[0:1]
	v_sub_u32_e32 v19, 29, v26
	v_and_b32_e32 v18, 7, v18
	v_cndmask_b32_e32 v19, v24, v19, vcc
	v_cndmask_b32_e32 v18, v23, v18, vcc
	v_lshlrev_b32_e32 v0, 24, v0
	v_lshlrev_b32_e32 v18, 20, v18
	v_and_b32_e32 v0, 0x80000000, v0
	v_lshl_add_u32 v19, v19, 23, v7
	v_or3_b32 v18, v0, v19, v18
.LBB2_1130:                             ;   in Loop: Header=BB2_738 Depth=2
	s_or_b64 exec, exec, s[72:73]
.LBB2_1131:                             ;   in Loop: Header=BB2_738 Depth=2
	s_or_b64 exec, exec, s[62:63]
.LBB2_1132:                             ;   in Loop: Header=BB2_738 Depth=2
	s_or_b64 exec, exec, s[16:17]
	v_cmp_lt_u32_e32 vcc, s39, v40
	s_and_saveexec_b64 s[16:17], vcc
	s_cbranch_execz .LBB2_1138
; %bb.1133:                             ;   in Loop: Header=BB2_738 Depth=2
	v_lshrrev_b32_e32 v0, 24, v40
	v_cmp_ne_u32_sdwa s[72:73], v40, s36 src0_sel:BYTE_3 src1_sel:DWORD
	v_bfrev_b32_e32 v17, 1
	s_and_saveexec_b64 s[62:63], s[72:73]
	s_cbranch_execz .LBB2_1137
; %bb.1134:                             ;   in Loop: Header=BB2_738 Depth=2
	v_bfe_u32 v19, v40, 24, 7
	v_cmp_ne_u32_e32 vcc, s37, v19
	v_mov_b32_e32 v17, 0x7f800001
	s_and_saveexec_b64 s[72:73], vcc
	s_cbranch_execz .LBB2_1136
; %bb.1135:                             ;   in Loop: Header=BB2_738 Depth=2
	v_and_b32_e32 v17, 7, v0
	v_lshrrev_b32_e32 v26, 3, v19
	v_cmp_gt_u32_e32 vcc, 8, v19
	v_ffbh_u32_e32 v19, v17
	v_min_u32_e32 v19, 32, v19
	v_subrev_u32_e32 v23, 28, v19
	v_lshlrev_b64 v[23:24], v23, v[0:1]
	v_sub_u32_e32 v0, 29, v19
	v_and_b32_e32 v19, 7, v23
	v_cndmask_b32_e32 v0, v26, v0, vcc
	v_cndmask_b32_e32 v17, v17, v19, vcc
	v_lshlrev_b32_sdwa v19, v55, v40 dst_sel:DWORD dst_unused:UNUSED_PAD src0_sel:DWORD src1_sel:BYTE_3
	v_lshlrev_b32_e32 v17, 20, v17
	v_and_b32_e32 v19, 0x80000000, v19
	v_lshl_add_u32 v0, v0, 23, v7
	v_or3_b32 v17, v19, v0, v17
.LBB2_1136:                             ;   in Loop: Header=BB2_738 Depth=2
	s_or_b64 exec, exec, s[72:73]
.LBB2_1137:                             ;   in Loop: Header=BB2_738 Depth=2
	s_or_b64 exec, exec, s[62:63]
.LBB2_1138:                             ;   in Loop: Header=BB2_738 Depth=2
	s_or_b64 exec, exec, s[16:17]
	v_add_f32_e32 v17, v18, v17
	v_and_b32_e32 v40, 0x7f800000, v17
	v_cmp_ne_u64_e32 vcc, s[46:47], v[40:41]
                                        ; implicit-def: $vgpr18
	s_and_saveexec_b64 s[16:17], vcc
	s_xor_b64 s[62:63], exec, s[16:17]
	s_cbranch_execz .LBB2_1152
; %bb.1139:                             ;   in Loop: Header=BB2_738 Depth=2
	v_and_b32_e32 v40, 0x7fffffff, v17
	v_cmp_gt_u64_e32 vcc, s[56:57], v[40:41]
	v_and_b32_sdwa v0, v17, s36 dst_sel:DWORD dst_unused:UNUSED_PAD src0_sel:BYTE_3 src1_sel:DWORD
                                        ; implicit-def: $vgpr18
	s_and_saveexec_b64 s[16:17], vcc
	s_xor_b64 s[72:73], exec, s[16:17]
	s_cbranch_execz .LBB2_1149
; %bb.1140:                             ;   in Loop: Header=BB2_738 Depth=2
	v_mov_b32_e32 v18, 0
	v_cmp_ne_u32_e32 vcc, 0, v17
	s_and_saveexec_b64 s[74:75], vcc
	s_cbranch_execz .LBB2_1148
; %bb.1141:                             ;   in Loop: Header=BB2_738 Depth=2
	v_bfe_u32 v26, v17, 23, 8
	v_and_b32_e32 v18, 0x7fffff, v17
	v_cmp_gt_u32_e64 s[16:17], s38, v26
	v_sub_u32_e32 v17, 0x79, v26
	v_cmp_eq_u32_e32 vcc, 0, v26
	v_cndmask_b32_e64 v17, 0, v17, s[16:17]
	v_cndmask_b32_e32 v27, v17, v8, vcc
	v_or_b32_e32 v19, 0x800000, v18
	v_add_u32_e32 v17, 20, v27
	v_cndmask_b32_e32 v40, v19, v18, vcc
	v_lshlrev_b64 v[17:18], v17, -1
	v_add_u32_e32 v19, 19, v27
	v_lshlrev_b64 v[23:24], v19, 1
	v_bfi_b32 v18, v18, 0, 0
	v_bfi_b32 v17, v17, 0, v40
	v_cmp_eq_u64_e64 s[16:17], v[17:18], v[23:24]
	v_lshrrev_b64 v[17:18], v27, v[40:41]
	v_mov_b32_e32 v19, v18
	v_mov_b32_e32 v18, v17
	s_and_saveexec_b64 s[76:77], s[16:17]
; %bb.1142:                             ;   in Loop: Header=BB2_738 Depth=2
	v_bfe_u32 v18, v17, 20, 1
	v_add_co_u32_e64 v18, s[16:17], v17, v18
	v_add_co_u32_e64 v18, s[16:17], -1, v18
; %bb.1143:                             ;   in Loop: Header=BB2_738 Depth=2
	s_or_b64 exec, exec, s[76:77]
	v_add_u32_e32 v19, 0xffffff81, v26
	v_cndmask_b32_e32 v19, v19, v54, vcc
	v_lshrrev_b32_e32 v23, 23, v17
	v_add3_u32 v24, v27, v19, v23
	v_add_u32_e32 v23, 6, v24
	v_and_b32_e32 v18, 0xfffff, v18
	v_add_u32_e32 v40, v18, v17
	v_cmp_ne_u32_e32 vcc, 0, v23
                                        ; implicit-def: $vgpr17_vgpr18
                                        ; implicit-def: $vgpr19
	s_and_saveexec_b64 s[16:17], vcc
	s_xor_b64 s[16:17], exec, s[16:17]
; %bb.1144:                             ;   in Loop: Header=BB2_738 Depth=2
	v_cmp_lt_u64_e32 vcc, s[58:59], v[40:41]
	v_add_u32_e32 v17, 7, v24
	v_cndmask_b32_e32 v19, v23, v17, vcc
	v_cndmask_b32_e64 v17, 0, 1, vcc
	v_lshrrev_b64 v[17:18], v17, v[40:41]
; %bb.1145:                             ;   in Loop: Header=BB2_738 Depth=2
	s_andn2_saveexec_b64 s[16:17], s[16:17]
; %bb.1146:                             ;   in Loop: Header=BB2_738 Depth=2
	v_mov_b32_e32 v17, v40
	v_bfe_u32 v19, v40, 23, 1
	v_mov_b32_e32 v18, v41
; %bb.1147:                             ;   in Loop: Header=BB2_738 Depth=2
	s_or_b64 exec, exec, s[16:17]
	v_lshrrev_b64 v[17:18], 20, v[17:18]
	v_cmp_gt_i32_e32 vcc, 16, v19
	v_cndmask_b32_e32 v18, 0, v18, vcc
	v_cndmask_b32_e32 v17, 7, v17, vcc
	v_cmp_eq_u64_e64 s[16:17], 0, v[17:18]
	v_min_i32_e32 v18, 15, v19
	v_lshlrev_b32_e32 v18, 3, v18
	v_cmp_eq_u32_e32 vcc, 0, v19
	v_and_b32_e32 v18, 0xf8, v18
	v_and_or_b32 v17, v17, 7, v18
	s_and_b64 s[16:17], vcc, s[16:17]
	v_cndmask_b32_e64 v17, v17, 0, s[16:17]
	v_or_b32_e32 v18, v17, v0
.LBB2_1148:                             ;   in Loop: Header=BB2_738 Depth=2
	s_or_b64 exec, exec, s[74:75]
                                        ; implicit-def: $vgpr0
.LBB2_1149:                             ;   in Loop: Header=BB2_738 Depth=2
	s_andn2_saveexec_b64 s[16:17], s[72:73]
; %bb.1150:                             ;   in Loop: Header=BB2_738 Depth=2
	v_or_b32_e32 v18, 0x7e, v0
; %bb.1151:                             ;   in Loop: Header=BB2_738 Depth=2
	s_or_b64 exec, exec, s[16:17]
                                        ; implicit-def: $vgpr17
.LBB2_1152:                             ;   in Loop: Header=BB2_738 Depth=2
	s_andn2_saveexec_b64 s[16:17], s[62:63]
; %bb.1153:                             ;   in Loop: Header=BB2_738 Depth=2
	v_or_b32_sdwa v18, v17, s37 dst_sel:DWORD dst_unused:UNUSED_PAD src0_sel:BYTE_3 src1_sel:DWORD
; %bb.1154:                             ;   in Loop: Header=BB2_738 Depth=2
	s_or_b64 exec, exec, s[16:17]
	v_lshlrev_b32_e32 v0, 16, v29
	v_lshlrev_b32_e32 v17, 24, v31
	v_lshl_or_b32 v0, v11, 8, v0
	v_lshlrev_b32_e32 v11, 16, v20
	v_or3_b32 v17, v0, v17, v9
	v_lshlrev_b32_e32 v0, 24, v18
	v_lshl_or_b32 v10, v10, 8, v11
	v_cmp_lt_u32_e32 vcc, 7, v48
	v_or3_b32 v18, v10, v0, v4
	s_cmp_lg_u64 vcc, exec
	s_mov_b64 s[16:17], -1
	s_cbranch_scc0 .LBB2_1164
; %bb.1155:                             ;   in Loop: Header=BB2_738 Depth=2
	v_cmp_ne_u32_e64 s[16:17], 1, v48
	flat_store_byte v[46:47], v9
	s_and_saveexec_b64 s[62:63], s[16:17]
	s_cbranch_execnz .LBB2_1166
; %bb.1156:                             ;   in Loop: Header=BB2_738 Depth=2
	s_or_b64 exec, exec, s[62:63]
	v_cmp_lt_u32_e64 s[16:17], 2, v48
	s_and_saveexec_b64 s[62:63], s[16:17]
	s_cbranch_execnz .LBB2_1167
.LBB2_1157:                             ;   in Loop: Header=BB2_738 Depth=2
	s_or_b64 exec, exec, s[62:63]
	v_cmp_lt_u32_e64 s[16:17], 3, v48
	s_and_saveexec_b64 s[62:63], s[16:17]
	s_cbranch_execnz .LBB2_1168
.LBB2_1158:                             ;   in Loop: Header=BB2_738 Depth=2
	s_or_b64 exec, exec, s[62:63]
	v_cmp_lt_u32_e64 s[16:17], 4, v48
	s_and_saveexec_b64 s[62:63], s[16:17]
	s_cbranch_execnz .LBB2_1169
.LBB2_1159:                             ;   in Loop: Header=BB2_738 Depth=2
	s_or_b64 exec, exec, s[62:63]
	v_cmp_lt_u32_e64 s[16:17], 5, v48
	s_and_saveexec_b64 s[62:63], s[16:17]
	s_cbranch_execnz .LBB2_1170
.LBB2_1160:                             ;   in Loop: Header=BB2_738 Depth=2
	s_or_b64 exec, exec, s[62:63]
	v_cmp_lt_u32_e64 s[16:17], 6, v48
	s_and_saveexec_b64 s[62:63], s[16:17]
	s_cbranch_execnz .LBB2_1171
.LBB2_1161:                             ;   in Loop: Header=BB2_738 Depth=2
	s_or_b64 exec, exec, s[62:63]
	s_and_saveexec_b64 s[16:17], vcc
	s_cbranch_execz .LBB2_1163
.LBB2_1162:                             ;   in Loop: Header=BB2_738 Depth=2
	v_lshrrev_b32_e32 v0, 24, v18
	flat_store_byte v[46:47], v0 offset:7
.LBB2_1163:                             ;   in Loop: Header=BB2_738 Depth=2
	s_or_b64 exec, exec, s[16:17]
	s_mov_b64 s[16:17], 0
.LBB2_1164:                             ;   in Loop: Header=BB2_738 Depth=2
	s_and_b64 vcc, exec, s[16:17]
	s_cbranch_vccz .LBB2_737
; %bb.1165:                             ;   in Loop: Header=BB2_738 Depth=2
	global_store_dwordx2 v[46:47], v[17:18], off
	s_branch .LBB2_737
.LBB2_1166:                             ;   in Loop: Header=BB2_738 Depth=2
	v_lshrrev_b32_e32 v0, 8, v17
	flat_store_byte v[46:47], v0 offset:1
	s_or_b64 exec, exec, s[62:63]
	v_cmp_lt_u32_e64 s[16:17], 2, v48
	s_and_saveexec_b64 s[62:63], s[16:17]
	s_cbranch_execz .LBB2_1157
.LBB2_1167:                             ;   in Loop: Header=BB2_738 Depth=2
	flat_store_byte_d16_hi v[46:47], v17 offset:2
	s_or_b64 exec, exec, s[62:63]
	v_cmp_lt_u32_e64 s[16:17], 3, v48
	s_and_saveexec_b64 s[62:63], s[16:17]
	s_cbranch_execz .LBB2_1158
.LBB2_1168:                             ;   in Loop: Header=BB2_738 Depth=2
	v_lshrrev_b32_e32 v0, 24, v17
	flat_store_byte v[46:47], v0 offset:3
	s_or_b64 exec, exec, s[62:63]
	v_cmp_lt_u32_e64 s[16:17], 4, v48
	s_and_saveexec_b64 s[62:63], s[16:17]
	s_cbranch_execz .LBB2_1159
.LBB2_1169:                             ;   in Loop: Header=BB2_738 Depth=2
	flat_store_byte v[46:47], v4 offset:4
	s_or_b64 exec, exec, s[62:63]
	v_cmp_lt_u32_e64 s[16:17], 5, v48
	s_and_saveexec_b64 s[62:63], s[16:17]
	s_cbranch_execz .LBB2_1160
.LBB2_1170:                             ;   in Loop: Header=BB2_738 Depth=2
	v_lshrrev_b32_e32 v0, 8, v18
	flat_store_byte v[46:47], v0 offset:5
	s_or_b64 exec, exec, s[62:63]
	v_cmp_lt_u32_e64 s[16:17], 6, v48
	s_and_saveexec_b64 s[62:63], s[16:17]
	s_cbranch_execz .LBB2_1161
.LBB2_1171:                             ;   in Loop: Header=BB2_738 Depth=2
	flat_store_byte_d16_hi v[46:47], v18 offset:6
	s_or_b64 exec, exec, s[62:63]
	s_and_saveexec_b64 s[16:17], vcc
	s_cbranch_execnz .LBB2_1162
	s_branch .LBB2_1163
.LBB2_1172:                             ;   in Loop: Header=BB2_30 Depth=1
	s_or_b64 exec, exec, s[60:61]
.LBB2_1173:                             ;   in Loop: Header=BB2_30 Depth=1
	s_or_b64 exec, exec, s[18:19]
	buffer_load_dword v17, off, s[0:3], s32 offset:148 ; 4-byte Folded Reload
	buffer_load_dword v18, off, s[0:3], s32 offset:152 ; 4-byte Folded Reload
	;; [unrolled: 1-line block ×8, first 2 shown]
	s_waitcnt vmcnt(0)
	v_mov_b32_e32 v27, v20
	v_mov_b32_e32 v26, v19
	s_and_saveexec_b64 s[16:17], s[10:11]
	s_cbranch_execz .LBB2_1192
; %bb.1174:                             ;   in Loop: Header=BB2_30 Depth=1
	s_and_saveexec_b64 s[18:19], s[40:41]
	s_xor_b64 s[18:19], exec, s[18:19]
	s_cbranch_execz .LBB2_1189
; %bb.1175:                             ;   in Loop: Header=BB2_30 Depth=1
	s_and_saveexec_b64 s[60:61], s[12:13]
	s_cbranch_execz .LBB2_1188
; %bb.1176:                             ;   in Loop: Header=BB2_30 Depth=1
	s_mov_b64 s[72:73], exec
	s_waitcnt lgkmcnt(0)
	v_mbcnt_lo_u32_b32 v0, s72, 0
	v_mbcnt_hi_u32_b32 v0, s73, v0
	v_cmp_eq_u32_e32 vcc, 0, v0
	buffer_wbinvl1_vol
	s_and_saveexec_b64 s[62:63], vcc
	s_cbranch_execz .LBB2_1178
; %bb.1177:                             ;   in Loop: Header=BB2_30 Depth=1
	s_bcnt1_i32_b64 s26, s[72:73]
	v_mov_b32_e32 v40, s26
	ds_add_u64 v0, v[40:41]
	s_trap 2
.LBB2_1178:                             ;   in Loop: Header=BB2_30 Depth=1
	s_or_b64 exec, exec, s[62:63]
	s_trap 2
	ds_read_b64 v[9:10], v0
	s_waitcnt lgkmcnt(0)
	buffer_load_dword v0, off, s[0:3], s32 offset:116 ; 4-byte Folded Reload
	s_waitcnt vmcnt(0)
	v_add_co_u32_e32 v2, vcc, v2, v0
	v_addc_co_u32_e32 v3, vcc, 0, v3, vcc
	v_cmp_lt_u64_e32 vcc, v[9:10], v[2:3]
	s_and_saveexec_b64 s[62:63], vcc
	s_cbranch_execz .LBB2_1187
; %bb.1179:                             ;   in Loop: Header=BB2_30 Depth=1
	s_mov_b32 s26, 0
	s_mov_b64 s[72:73], 0
                                        ; implicit-def: $sgpr74_sgpr75
                                        ; implicit-def: $sgpr76_sgpr77
	s_branch .LBB2_1181
.LBB2_1180:                             ;   in Loop: Header=BB2_1181 Depth=2
	s_or_b64 exec, exec, s[88:89]
	s_and_b64 s[78:79], exec, s[90:91]
	s_or_b64 s[72:73], s[78:79], s[72:73]
	s_andn2_b64 s[74:75], s[74:75], exec
	s_and_b64 s[78:79], s[76:77], exec
	s_or_b64 s[74:75], s[74:75], s[78:79]
	s_andn2_b64 exec, exec, s[72:73]
	s_cbranch_execz .LBB2_1185
.LBB2_1181:                             ;   Parent Loop BB2_30 Depth=1
                                        ; =>  This Inner Loop Header: Depth=2
	s_add_i32 s26, s26, 1
	s_cmpk_lg_i32 s26, 0x2710
	s_cselect_b64 s[78:79], -1, 0
	s_and_b64 vcc, exec, s[78:79]
	s_cbranch_vccz .LBB2_1183
; %bb.1182:                             ;   in Loop: Header=BB2_1181 Depth=2
	s_mov_b64 s[90:91], -1
	s_or_b64 s[76:77], s[76:77], exec
	s_and_saveexec_b64 s[88:89], s[78:79]
	s_cbranch_execz .LBB2_1180
	s_branch .LBB2_1184
.LBB2_1183:                             ;   in Loop: Header=BB2_1181 Depth=2
	s_trap 2
	ds_read_b64 v[9:10], v0
	s_andn2_b64 s[78:79], s[78:79], exec
	s_mov_b32 s26, 0
	s_waitcnt lgkmcnt(0)
	flat_load_dword v0, v[9:10] glc
	s_waitcnt vmcnt(0) lgkmcnt(0)
	buffer_wbinvl1_vol
	v_cmp_eq_u32_e32 vcc, 0, v0
	s_and_b64 s[88:89], vcc, exec
	s_or_b64 s[78:79], s[78:79], s[88:89]
	s_mov_b64 s[90:91], -1
	s_or_b64 s[76:77], s[76:77], exec
	s_and_saveexec_b64 s[88:89], s[78:79]
	s_cbranch_execz .LBB2_1180
.LBB2_1184:                             ;   in Loop: Header=BB2_1181 Depth=2
	s_sleep 1
	s_trap 2
	ds_read_b64 v[9:10], v0
	s_waitcnt lgkmcnt(0)
	s_andn2_b64 s[76:77], s[76:77], exec
	v_cmp_ge_u64_e32 vcc, v[9:10], v[2:3]
	s_orn2_b64 s[90:91], vcc, exec
	s_branch .LBB2_1180
.LBB2_1185:                             ;   in Loop: Header=BB2_30 Depth=1
	s_or_b64 exec, exec, s[72:73]
	s_and_saveexec_b64 s[72:73], s[74:75]
	s_xor_b64 s[72:73], exec, s[72:73]
	s_cbranch_execz .LBB2_1187
; %bb.1186:                             ;   in Loop: Header=BB2_30 Depth=1
	v_mov_b32_e32 v0, 1
	ds_write_b32 v0, v0
	s_trap 2
.LBB2_1187:                             ;   in Loop: Header=BB2_30 Depth=1
	s_or_b64 exec, exec, s[62:63]
	;;#ASMSTART
	s_wakeup
	;;#ASMEND
.LBB2_1188:                             ;   in Loop: Header=BB2_30 Depth=1
	s_or_b64 exec, exec, s[60:61]
.LBB2_1189:                             ;   in Loop: Header=BB2_30 Depth=1
	s_andn2_saveexec_b64 s[18:19], s[18:19]
	s_cbranch_execz .LBB2_1191
; %bb.1190:                             ;   in Loop: Header=BB2_30 Depth=1
	s_waitcnt lgkmcnt(0)
	buffer_wbinvl1_vol
	s_barrier
.LBB2_1191:                             ;   in Loop: Header=BB2_30 Depth=1
	s_or_b64 exec, exec, s[18:19]
.LBB2_1192:                             ;   in Loop: Header=BB2_30 Depth=1
	s_or_b64 exec, exec, s[16:17]
	s_and_saveexec_b64 s[16:17], s[14:15]
	s_cbranch_execz .LBB2_29
; %bb.1193:                             ;   in Loop: Header=BB2_30 Depth=1
	buffer_load_dword v9, off, s[0:3], s32 offset:88 ; 4-byte Folded Reload
	buffer_load_dword v10, off, s[0:3], s32 offset:92 ; 4-byte Folded Reload
	v_add_co_u32_e32 v38, vcc, 1, v38
	v_addc_co_u32_e32 v39, vcc, 0, v39, vcc
	s_waitcnt vmcnt(0)
	flat_store_dwordx2 v[9:10], v[38:39]
	s_branch .LBB2_29
.LBB2_1194:
	s_or_b64 exec, exec, s[28:29]
	buffer_load_dword v31, off, s[0:3], s32 offset:228 ; 4-byte Folded Reload
	buffer_load_dword v11, off, s[0:3], s32 offset:232 ; 4-byte Folded Reload
	;; [unrolled: 1-line block ×6, first 2 shown]
	s_or_b64 exec, exec, s[24:25]
	s_and_saveexec_b64 s[6:7], s[22:23]
	s_cbranch_execz .LBB2_26
.LBB2_1195:
	s_waitcnt vmcnt(0) lgkmcnt(0)
	flat_store_dwordx2 v[28:29], v[38:39] offset:104
	s_or_b64 exec, exec, s[6:7]
	s_and_saveexec_b64 s[6:7], s[4:5]
	s_cbranch_execz .LBB2_27
.LBB2_1196:
	s_waitcnt vmcnt(0) lgkmcnt(0)
	flat_store_dwordx2 v[8:9], v[15:16] offset:104
	s_or_b64 exec, exec, s[6:7]
	v_cmp_ne_u32_e32 vcc, 64, v1
	s_and_saveexec_b64 s[4:5], vcc
	s_cbranch_execz .LBB2_1214
.LBB2_1197:
	s_waitcnt vmcnt(0)
	v_cmp_ne_u32_sdwa s[6:7], v1, v11 src0_sel:DWORD src1_sel:WORD_0
	s_and_saveexec_b64 s[8:9], s[6:7]
	s_xor_b64 s[6:7], exec, s[8:9]
	s_cbranch_execz .LBB2_1212
; %bb.1198:
	s_waitcnt lgkmcnt(0)
	v_and_b32_e32 v0, 63, v31
	v_cmp_eq_u32_e32 vcc, 0, v0
	s_and_saveexec_b64 s[8:9], vcc
	s_cbranch_execz .LBB2_1211
; %bb.1199:
	s_mov_b64 s[12:13], exec
	v_mbcnt_lo_u32_b32 v0, s12, 0
	v_mbcnt_hi_u32_b32 v0, s13, v0
	v_cmp_eq_u32_e32 vcc, 0, v0
	buffer_wbinvl1_vol
	s_and_saveexec_b64 s[10:11], vcc
	s_cbranch_execz .LBB2_1201
; %bb.1200:
	s_bcnt1_i32_b64 s12, s[12:13]
	v_mov_b32_e32 v4, s12
	v_mov_b32_e32 v5, 0
	ds_add_u64 v0, v[4:5]
	s_trap 2
.LBB2_1201:
	s_or_b64 exec, exec, s[10:11]
	v_lshrrev_b32_e32 v0, 6, v1
	s_trap 2
	ds_read_b64 v[4:5], v0
	s_waitcnt lgkmcnt(0)
	v_add_co_u32_e32 v0, vcc, v2, v0
	v_addc_co_u32_e32 v1, vcc, 0, v3, vcc
	v_cmp_lt_u64_e32 vcc, v[4:5], v[0:1]
	s_and_saveexec_b64 s[10:11], vcc
	s_cbranch_execz .LBB2_1210
; %bb.1202:
	s_mov_b32 s24, 0
	s_mov_b64 s[12:13], 0
                                        ; implicit-def: $sgpr14_sgpr15
                                        ; implicit-def: $sgpr16_sgpr17
	s_branch .LBB2_1204
.LBB2_1203:                             ;   in Loop: Header=BB2_1204 Depth=1
	s_or_b64 exec, exec, s[20:21]
	s_and_b64 s[18:19], exec, s[22:23]
	s_or_b64 s[12:13], s[18:19], s[12:13]
	s_andn2_b64 s[14:15], s[14:15], exec
	s_and_b64 s[18:19], s[16:17], exec
	s_or_b64 s[14:15], s[14:15], s[18:19]
	s_andn2_b64 exec, exec, s[12:13]
	s_cbranch_execz .LBB2_1208
.LBB2_1204:                             ; =>This Inner Loop Header: Depth=1
	s_add_i32 s24, s24, 1
	s_cmpk_lg_i32 s24, 0x2710
	s_cselect_b64 s[18:19], -1, 0
	s_and_b64 vcc, exec, s[18:19]
	s_cbranch_vccz .LBB2_1206
; %bb.1205:                             ;   in Loop: Header=BB2_1204 Depth=1
	s_mov_b64 s[22:23], -1
	s_or_b64 s[16:17], s[16:17], exec
	s_and_saveexec_b64 s[20:21], s[18:19]
	s_cbranch_execz .LBB2_1203
	s_branch .LBB2_1207
.LBB2_1206:                             ;   in Loop: Header=BB2_1204 Depth=1
	s_trap 2
	ds_read_b64 v[2:3], v0
	s_andn2_b64 s[18:19], s[18:19], exec
	s_mov_b32 s24, 0
	s_waitcnt lgkmcnt(0)
	flat_load_dword v2, v[2:3] glc
	s_waitcnt vmcnt(0) lgkmcnt(0)
	buffer_wbinvl1_vol
	v_cmp_eq_u32_e32 vcc, 0, v2
	s_and_b64 s[20:21], vcc, exec
	s_or_b64 s[18:19], s[18:19], s[20:21]
	s_mov_b64 s[22:23], -1
	s_or_b64 s[16:17], s[16:17], exec
	s_and_saveexec_b64 s[20:21], s[18:19]
	s_cbranch_execz .LBB2_1203
.LBB2_1207:                             ;   in Loop: Header=BB2_1204 Depth=1
	s_sleep 1
	s_trap 2
	ds_read_b64 v[2:3], v0
	s_waitcnt lgkmcnt(0)
	s_andn2_b64 s[16:17], s[16:17], exec
	v_cmp_ge_u64_e32 vcc, v[2:3], v[0:1]
	s_orn2_b64 s[22:23], vcc, exec
	s_branch .LBB2_1203
.LBB2_1208:
	s_or_b64 exec, exec, s[12:13]
	s_and_saveexec_b64 s[12:13], s[14:15]
	s_xor_b64 s[12:13], exec, s[12:13]
	s_cbranch_execz .LBB2_1210
; %bb.1209:
	v_mov_b32_e32 v0, 1
	ds_write_b32 v0, v0
	s_trap 2
.LBB2_1210:
	s_or_b64 exec, exec, s[10:11]
	;;#ASMSTART
	s_wakeup
	;;#ASMEND
.LBB2_1211:
	s_or_b64 exec, exec, s[8:9]
.LBB2_1212:
	s_andn2_saveexec_b64 s[6:7], s[6:7]
	s_cbranch_execz .LBB2_1214
; %bb.1213:
	s_waitcnt lgkmcnt(0)
	buffer_wbinvl1_vol
	s_barrier
.LBB2_1214:
	s_or_b64 exec, exec, s[4:5]
	buffer_load_dword v62, off, s[0:3], s32 ; 4-byte Folded Reload
	buffer_load_dword v61, off, s[0:3], s32 offset:4 ; 4-byte Folded Reload
	buffer_load_dword v60, off, s[0:3], s32 offset:8 ; 4-byte Folded Reload
	;; [unrolled: 1-line block ×14, first 2 shown]
	v_readlane_b32 s30, v63, 7
	v_readlane_b32 s31, v63, 8
	;; [unrolled: 1-line block ×9, first 2 shown]
	s_or_saveexec_b64 s[4:5], -1
	buffer_load_dword v63, off, s[0:3], s32 offset:252 ; 4-byte Folded Reload
	s_mov_b64 exec, s[4:5]
	s_waitcnt vmcnt(0) lgkmcnt(0)
	s_setpc_b64 s[30:31]
.Lfunc_end2:
	.size	_ZN12_GLOBAL__N_17runRingI14__hip_fp8_e4m313FuncPreMulSumIS1_E7ProtoLLLi0ELi2ELi0EEEviiP15ncclDevWorkColl, .Lfunc_end2-_ZN12_GLOBAL__N_17runRingI14__hip_fp8_e4m313FuncPreMulSumIS1_E7ProtoLLLi0ELi2ELi0EEEviiP15ncclDevWorkColl
                                        ; -- End function
	.set .L_ZN12_GLOBAL__N_17runRingI14__hip_fp8_e4m313FuncPreMulSumIS1_E7ProtoLLLi0ELi2ELi0EEEviiP15ncclDevWorkColl.num_vgpr, 64
	.set .L_ZN12_GLOBAL__N_17runRingI14__hip_fp8_e4m313FuncPreMulSumIS1_E7ProtoLLLi0ELi2ELi0EEEviiP15ncclDevWorkColl.num_agpr, 0
	.set .L_ZN12_GLOBAL__N_17runRingI14__hip_fp8_e4m313FuncPreMulSumIS1_E7ProtoLLLi0ELi2ELi0EEEviiP15ncclDevWorkColl.numbered_sgpr, 96
	.set .L_ZN12_GLOBAL__N_17runRingI14__hip_fp8_e4m313FuncPreMulSumIS1_E7ProtoLLLi0ELi2ELi0EEEviiP15ncclDevWorkColl.num_named_barrier, 0
	.set .L_ZN12_GLOBAL__N_17runRingI14__hip_fp8_e4m313FuncPreMulSumIS1_E7ProtoLLLi0ELi2ELi0EEEviiP15ncclDevWorkColl.private_seg_size, 260
	.set .L_ZN12_GLOBAL__N_17runRingI14__hip_fp8_e4m313FuncPreMulSumIS1_E7ProtoLLLi0ELi2ELi0EEEviiP15ncclDevWorkColl.uses_vcc, 1
	.set .L_ZN12_GLOBAL__N_17runRingI14__hip_fp8_e4m313FuncPreMulSumIS1_E7ProtoLLLi0ELi2ELi0EEEviiP15ncclDevWorkColl.uses_flat_scratch, 0
	.set .L_ZN12_GLOBAL__N_17runRingI14__hip_fp8_e4m313FuncPreMulSumIS1_E7ProtoLLLi0ELi2ELi0EEEviiP15ncclDevWorkColl.has_dyn_sized_stack, 0
	.set .L_ZN12_GLOBAL__N_17runRingI14__hip_fp8_e4m313FuncPreMulSumIS1_E7ProtoLLLi0ELi2ELi0EEEviiP15ncclDevWorkColl.has_recursion, 0
	.set .L_ZN12_GLOBAL__N_17runRingI14__hip_fp8_e4m313FuncPreMulSumIS1_E7ProtoLLLi0ELi2ELi0EEEviiP15ncclDevWorkColl.has_indirect_call, 0
	.section	.AMDGPU.csdata,"",@progbits
; Function info:
; codeLenInByte = 36048
; TotalNumSgprs: 100
; NumVgprs: 64
; ScratchSize: 260
; MemoryBound: 0
	.text
	.p2align	2                               ; -- Begin function _Z56ncclDevFunc_ReduceScatter_RING_LL_PreMulSum_f8e4m3_0_0_2v
	.type	_Z56ncclDevFunc_ReduceScatter_RING_LL_PreMulSum_f8e4m3_0_0_2v,@function
_Z56ncclDevFunc_ReduceScatter_RING_LL_PreMulSum_f8e4m3_0_0_2v: ; @_Z56ncclDevFunc_ReduceScatter_RING_LL_PreMulSum_f8e4m3_0_0_2v
; %bb.0:
	s_waitcnt vmcnt(0) expcnt(0) lgkmcnt(0)
	s_mov_b32 s4, s33
	s_mov_b32 s33, s32
	s_or_saveexec_b64 s[6:7], -1
	buffer_store_dword v43, off, s[0:3], s33 offset:16 ; 4-byte Folded Spill
	s_mov_b64 exec, s[6:7]
	v_writelane_b32 v43, s4, 15
	s_addk_i32 s32, 0x800
	buffer_store_dword v40, off, s[0:3], s33 offset:12 ; 4-byte Folded Spill
	buffer_store_dword v41, off, s[0:3], s33 offset:8 ; 4-byte Folded Spill
	;; [unrolled: 1-line block ×3, first 2 shown]
	buffer_store_dword v63, off, s[0:3], s33 ; 4-byte Folded Spill
	v_writelane_b32 v43, s34, 0
	v_writelane_b32 v43, s35, 1
	;; [unrolled: 1-line block ×15, first 2 shown]
	s_trap 2
	ds_read_b32 v0, v0
	v_mov_b32_e32 v40, v31
	v_and_b32_e32 v41, 0x3ff, v40
	s_mov_b32 s49, s12
	s_mov_b64 s[50:51], s[8:9]
	s_waitcnt lgkmcnt(0)
	v_cmp_lt_i32_e32 vcc, v41, v0
	s_and_saveexec_b64 s[4:5], vcc
	s_cbranch_execz .LBB3_5
; %bb.1:
	s_load_dword s6, s[50:51], 0x0
	v_mov_b32_e32 v1, 0
	s_mov_b32 s10, 0
	v_mov_b32_e32 v4, v41
                                        ; implicit-def: $vgpr3
	s_waitcnt lgkmcnt(0)
	s_cmp_lt_u32 s49, s6
	s_cselect_b32 s6, 12, 18
	s_add_u32 s6, s50, s6
	s_addc_u32 s7, s51, 0
	global_load_ushort v1, v1, s[6:7]
	s_trap 2
	ds_read_b32 v2, v0
	s_mov_b64 s[6:7], 0
	s_waitcnt vmcnt(0) lgkmcnt(0)
	v_mul_lo_u32 v2, v2, v1
	s_branch .LBB3_3
.LBB3_2:                                ;   in Loop: Header=BB3_3 Depth=1
	s_or_b64 exec, exec, s[8:9]
	v_add_u32_e32 v4, v4, v1
	v_cmp_ge_i32_e32 vcc, v4, v0
	s_or_b64 s[6:7], vcc, s[6:7]
	v_add_u32_e32 v3, v3, v2
	s_andn2_b64 exec, exec, s[6:7]
	s_cbranch_execz .LBB3_5
.LBB3_3:                                ; =>This Inner Loop Header: Depth=1
	ds_read_b32 v5, v3
	s_waitcnt lgkmcnt(0)
	v_and_b32_e32 v5, 0x1000000, v5
	v_cmp_ne_u32_e32 vcc, 0, v5
	s_and_saveexec_b64 s[8:9], vcc
	s_cbranch_execz .LBB3_2
; %bb.4:                                ;   in Loop: Header=BB3_3 Depth=1
	ds_read_b64 v[5:6], v3 offset:104
	s_waitcnt lgkmcnt(0)
	flat_load_ubyte v5, v[5:6]
	v_mov_b32_e32 v6, s10
	s_waitcnt vmcnt(0) lgkmcnt(0)
	v_and_b32_e32 v5, 0xffff, v5
	ds_write_b64 v3, v[5:6] offset:104
	s_branch .LBB3_2
.LBB3_5:
	s_or_b64 exec, exec, s[4:5]
	s_waitcnt vmcnt(0) lgkmcnt(0)
	s_barrier
	s_trap 2
	ds_read_b32 v0, v0
	s_waitcnt lgkmcnt(0)
	v_cmp_gt_i32_e32 vcc, 1, v0
	s_cbranch_vccnz .LBB3_13
; %bb.6:
	s_mov_b32 s54, 0
	v_mov_b32_e32 v42, 6
	s_branch .LBB3_8
.LBB3_7:                                ;   in Loop: Header=BB3_8 Depth=1
	s_or_b64 exec, exec, s[52:53]
	s_trap 2
	ds_read_b32 v0, v0
	s_add_i32 s54, s54, 1
	s_waitcnt lgkmcnt(0)
	v_cmp_lt_i32_e32 vcc, s54, v0
	s_cbranch_vccz .LBB3_13
.LBB3_8:                                ; =>This Inner Loop Header: Depth=1
	s_trap 2
	ds_read_b32 v0, v0
	s_cmp_eq_u32 s54, 0
	s_cbranch_scc1 .LBB3_11
; %bb.9:                                ;   in Loop: Header=BB3_8 Depth=1
	s_trap 2
	s_waitcnt lgkmcnt(0)
	ds_read_b32 v1, v0
	s_waitcnt lgkmcnt(0)
	v_xor_b32_e32 v1, v1, v0
	v_and_b32_e32 v1, 0xff0000, v1
	v_cmp_eq_u32_e32 vcc, 0, v1
	s_cbranch_vccnz .LBB3_11
; %bb.10:                               ;   in Loop: Header=BB3_8 Depth=1
	s_barrier
	ds_read_b32 v0, v0
.LBB3_11:                               ;   in Loop: Header=BB3_8 Depth=1
	s_waitcnt lgkmcnt(0)
	v_lshlrev_b32_sdwa v1, v42, v0 dst_sel:DWORD dst_unused:UNUSED_PAD src0_sel:DWORD src1_sel:BYTE_2
	v_cmp_lt_u32_e32 vcc, v41, v1
	s_and_saveexec_b64 s[52:53], vcc
	s_cbranch_execz .LBB3_7
; %bb.12:                               ;   in Loop: Header=BB3_8 Depth=1
	s_mov_b64 s[4:5], src_shared_base
	s_getpc_b64 s[6:7]
	s_add_u32 s6, s6, _ZN12_GLOBAL__N_17runRingI14__hip_fp8_e4m313FuncPreMulSumIS1_E7ProtoLLLi0ELi2ELi0EEEviiP15ncclDevWorkColl@rel32@lo+4
	s_addc_u32 s7, s7, _ZN12_GLOBAL__N_17runRingI14__hip_fp8_e4m313FuncPreMulSumIS1_E7ProtoLLLi0ELi2ELi0EEEviiP15ncclDevWorkColl@rel32@hi+12
	s_mov_b64 s[8:9], s[50:51]
	s_mov_b32 s12, s49
	v_mov_b32_e32 v31, v40
	v_mov_b32_e32 v0, v41
	;; [unrolled: 1-line block ×3, first 2 shown]
	s_swappc_b64 s[30:31], s[6:7]
	s_branch .LBB3_7
.LBB3_13:
	buffer_load_dword v63, off, s[0:3], s33 ; 4-byte Folded Reload
	buffer_load_dword v42, off, s[0:3], s33 offset:4 ; 4-byte Folded Reload
	buffer_load_dword v41, off, s[0:3], s33 offset:8 ; 4-byte Folded Reload
	buffer_load_dword v40, off, s[0:3], s33 offset:12 ; 4-byte Folded Reload
	v_readlane_b32 s30, v43, 13
	v_readlane_b32 s31, v43, 14
	;; [unrolled: 1-line block ×15, first 2 shown]
	s_mov_b32 s32, s33
	v_readlane_b32 s4, v43, 15
	s_or_saveexec_b64 s[6:7], -1
	buffer_load_dword v43, off, s[0:3], s33 offset:16 ; 4-byte Folded Reload
	s_mov_b64 exec, s[6:7]
	s_mov_b32 s33, s4
	s_waitcnt vmcnt(0)
	s_setpc_b64 s[30:31]
.Lfunc_end3:
	.size	_Z56ncclDevFunc_ReduceScatter_RING_LL_PreMulSum_f8e4m3_0_0_2v, .Lfunc_end3-_Z56ncclDevFunc_ReduceScatter_RING_LL_PreMulSum_f8e4m3_0_0_2v
                                        ; -- End function
	.set .L_Z56ncclDevFunc_ReduceScatter_RING_LL_PreMulSum_f8e4m3_0_0_2v.num_vgpr, max(64, .L_ZN12_GLOBAL__N_17runRingI14__hip_fp8_e4m313FuncPreMulSumIS1_E7ProtoLLLi0ELi2ELi0EEEviiP15ncclDevWorkColl.num_vgpr)
	.set .L_Z56ncclDevFunc_ReduceScatter_RING_LL_PreMulSum_f8e4m3_0_0_2v.num_agpr, max(0, .L_ZN12_GLOBAL__N_17runRingI14__hip_fp8_e4m313FuncPreMulSumIS1_E7ProtoLLLi0ELi2ELi0EEEviiP15ncclDevWorkColl.num_agpr)
	.set .L_Z56ncclDevFunc_ReduceScatter_RING_LL_PreMulSum_f8e4m3_0_0_2v.numbered_sgpr, max(55, .L_ZN12_GLOBAL__N_17runRingI14__hip_fp8_e4m313FuncPreMulSumIS1_E7ProtoLLLi0ELi2ELi0EEEviiP15ncclDevWorkColl.numbered_sgpr)
	.set .L_Z56ncclDevFunc_ReduceScatter_RING_LL_PreMulSum_f8e4m3_0_0_2v.num_named_barrier, max(0, .L_ZN12_GLOBAL__N_17runRingI14__hip_fp8_e4m313FuncPreMulSumIS1_E7ProtoLLLi0ELi2ELi0EEEviiP15ncclDevWorkColl.num_named_barrier)
	.set .L_Z56ncclDevFunc_ReduceScatter_RING_LL_PreMulSum_f8e4m3_0_0_2v.private_seg_size, 32+max(.L_ZN12_GLOBAL__N_17runRingI14__hip_fp8_e4m313FuncPreMulSumIS1_E7ProtoLLLi0ELi2ELi0EEEviiP15ncclDevWorkColl.private_seg_size)
	.set .L_Z56ncclDevFunc_ReduceScatter_RING_LL_PreMulSum_f8e4m3_0_0_2v.uses_vcc, or(1, .L_ZN12_GLOBAL__N_17runRingI14__hip_fp8_e4m313FuncPreMulSumIS1_E7ProtoLLLi0ELi2ELi0EEEviiP15ncclDevWorkColl.uses_vcc)
	.set .L_Z56ncclDevFunc_ReduceScatter_RING_LL_PreMulSum_f8e4m3_0_0_2v.uses_flat_scratch, or(0, .L_ZN12_GLOBAL__N_17runRingI14__hip_fp8_e4m313FuncPreMulSumIS1_E7ProtoLLLi0ELi2ELi0EEEviiP15ncclDevWorkColl.uses_flat_scratch)
	.set .L_Z56ncclDevFunc_ReduceScatter_RING_LL_PreMulSum_f8e4m3_0_0_2v.has_dyn_sized_stack, or(0, .L_ZN12_GLOBAL__N_17runRingI14__hip_fp8_e4m313FuncPreMulSumIS1_E7ProtoLLLi0ELi2ELi0EEEviiP15ncclDevWorkColl.has_dyn_sized_stack)
	.set .L_Z56ncclDevFunc_ReduceScatter_RING_LL_PreMulSum_f8e4m3_0_0_2v.has_recursion, or(1, .L_ZN12_GLOBAL__N_17runRingI14__hip_fp8_e4m313FuncPreMulSumIS1_E7ProtoLLLi0ELi2ELi0EEEviiP15ncclDevWorkColl.has_recursion)
	.set .L_Z56ncclDevFunc_ReduceScatter_RING_LL_PreMulSum_f8e4m3_0_0_2v.has_indirect_call, or(0, .L_ZN12_GLOBAL__N_17runRingI14__hip_fp8_e4m313FuncPreMulSumIS1_E7ProtoLLLi0ELi2ELi0EEEviiP15ncclDevWorkColl.has_indirect_call)
	.section	.AMDGPU.csdata,"",@progbits
; Function info:
; codeLenInByte = 848
; TotalNumSgprs: 100
; NumVgprs: 64
; ScratchSize: 292
; MemoryBound: 0
	.text
	.p2align	2                               ; -- Begin function _ZN12_GLOBAL__N_17runRingI14__hip_fp8_e4m313FuncPreMulSumIS1_E7ProtoLLLi0ELi4ELi0EEEviiP15ncclDevWorkColl
	.type	_ZN12_GLOBAL__N_17runRingI14__hip_fp8_e4m313FuncPreMulSumIS1_E7ProtoLLLi0ELi4ELi0EEEviiP15ncclDevWorkColl,@function
_ZN12_GLOBAL__N_17runRingI14__hip_fp8_e4m313FuncPreMulSumIS1_E7ProtoLLLi0ELi4ELi0EEEviiP15ncclDevWorkColl: ; @_ZN12_GLOBAL__N_17runRingI14__hip_fp8_e4m313FuncPreMulSumIS1_E7ProtoLLLi0ELi4ELi0EEEviiP15ncclDevWorkColl
; %bb.0:
	s_waitcnt vmcnt(0) expcnt(0) lgkmcnt(0)
	s_or_saveexec_b64 s[4:5], -1
	buffer_store_dword v63, off, s[0:3], s32 offset:252 ; 4-byte Folded Spill
	s_mov_b64 exec, s[4:5]
	buffer_store_dword v40, off, s[0:3], s32 offset:56 ; 4-byte Folded Spill
	buffer_store_dword v41, off, s[0:3], s32 offset:52 ; 4-byte Folded Spill
	buffer_store_dword v42, off, s[0:3], s32 offset:48 ; 4-byte Folded Spill
	buffer_store_dword v43, off, s[0:3], s32 offset:44 ; 4-byte Folded Spill
	buffer_store_dword v44, off, s[0:3], s32 offset:40 ; 4-byte Folded Spill
	buffer_store_dword v45, off, s[0:3], s32 offset:36 ; 4-byte Folded Spill
	buffer_store_dword v46, off, s[0:3], s32 offset:32 ; 4-byte Folded Spill
	buffer_store_dword v47, off, s[0:3], s32 offset:28 ; 4-byte Folded Spill
	buffer_store_dword v56, off, s[0:3], s32 offset:24 ; 4-byte Folded Spill
	buffer_store_dword v57, off, s[0:3], s32 offset:20 ; 4-byte Folded Spill
	buffer_store_dword v58, off, s[0:3], s32 offset:16 ; 4-byte Folded Spill
	buffer_store_dword v59, off, s[0:3], s32 offset:12 ; 4-byte Folded Spill
	buffer_store_dword v60, off, s[0:3], s32 offset:8 ; 4-byte Folded Spill
	buffer_store_dword v61, off, s[0:3], s32 offset:4 ; 4-byte Folded Spill
	buffer_store_dword v62, off, s[0:3], s32 ; 4-byte Folded Spill
	v_writelane_b32 v63, s34, 0
	v_writelane_b32 v63, s35, 1
	;; [unrolled: 1-line block ×9, first 2 shown]
	s_trap 2
	flat_load_dword v6, v[2:3]
	flat_load_dwordx4 v[24:27], v[2:3] offset:72
	flat_load_dwordx2 v[17:18], v[2:3] offset:88
	v_mov_b32_e32 v10, v0
	ds_read_b32 v4, v0
	s_waitcnt lgkmcnt(0)
	v_readfirstlane_b32 s20, v4
	s_waitcnt vmcnt(0)
	v_not_b32_sdwa v5, v6 dst_sel:DWORD dst_unused:UNUSED_PAD src0_sel:BYTE_0
	v_add_u32_sdwa v0, v6, v5 dst_sel:DWORD dst_unused:UNUSED_PAD src0_sel:BYTE_1 src1_sel:DWORD
	v_ashrrev_i32_e32 v7, 31, v0
	v_mul_lo_u32 v8, v27, v0
	v_mad_u64_u32 v[19:20], s[4:5], v26, v0, 0
	v_mul_lo_u32 v0, v26, v7
	v_cmp_ne_u32_sdwa s[4:5], v4, v6 src0_sel:DWORD src1_sel:BYTE_0
	ds_read_b64 v[60:61], v0
	v_add3_u32 v0, v20, v0, v8
                                        ; implicit-def: $vgpr20_vgpr21
                                        ; implicit-def: $vgpr7_vgpr8
                                        ; kill: killed $vgpr7_vgpr8
	s_and_saveexec_b64 s[6:7], s[4:5]
	s_xor_b64 s[4:5], exec, s[6:7]
	s_cbranch_execz .LBB4_6
; %bb.1:
	v_cmp_ne_u32_sdwa s[6:7], v4, v6 src0_sel:DWORD src1_sel:BYTE_1
                                        ; implicit-def: $vgpr20_vgpr21
                                        ; implicit-def: $vgpr6_vgpr7
                                        ; kill: killed $vgpr6_vgpr7
	s_and_saveexec_b64 s[10:11], s[6:7]
	s_xor_b64 s[6:7], exec, s[10:11]
	s_cbranch_execz .LBB4_3
; %bb.2:
	flat_load_dwordx2 v[6:7], v[2:3] offset:96
	v_add_u32_e32 v4, v4, v5
	v_ashrrev_i32_e32 v5, 31, v4
	v_mul_lo_u32 v5, v26, v5
	v_mul_lo_u32 v8, v27, v4
	v_mad_u64_u32 v[11:12], s[10:11], v26, v4, v[24:25]
	v_add3_u32 v12, v8, v12, v5
	buffer_store_dword v11, off, s[0:3], s32 offset:140 ; 4-byte Folded Spill
	s_nop 0
	buffer_store_dword v12, off, s[0:3], s32 offset:144 ; 4-byte Folded Spill
	s_waitcnt vmcnt(0) lgkmcnt(0)
	v_lshrrev_b64 v[20:21], 17, v[6:7]
.LBB4_3:
	s_andn2_saveexec_b64 s[6:7], s[6:7]
	s_cbranch_execz .LBB4_5
; %bb.4:
	flat_load_dword v4, v[2:3] offset:100
	v_add_co_u32_e32 v5, vcc, v19, v24
	v_mov_b32_e32 v27, v18
	v_addc_co_u32_e32 v6, vcc, v0, v25, vcc
	v_mov_b32_e32 v26, v17
	buffer_store_dword v5, off, s[0:3], s32 offset:140 ; 4-byte Folded Spill
	s_nop 0
	buffer_store_dword v6, off, s[0:3], s32 offset:144 ; 4-byte Folded Spill
	s_waitcnt vmcnt(0) lgkmcnt(0)
	v_lshrrev_b32_e32 v20, 6, v4
.LBB4_5:
	s_or_b64 exec, exec, s[6:7]
.LBB4_6:
	s_andn2_saveexec_b64 s[4:5], s[4:5]
	s_cbranch_execz .LBB4_8
; %bb.7:
	flat_load_dwordx2 v[4:5], v[2:3] offset:96
	v_mov_b32_e32 v27, v25
	v_mov_b32_e32 v26, v24
	s_waitcnt vmcnt(0) lgkmcnt(0)
	v_lshlrev_b64 v[20:21], 4, v[4:5]
	v_mov_b32_e32 v4, 0
	v_mov_b32_e32 v5, 0
	buffer_store_dword v4, off, s[0:3], s32 offset:140 ; 4-byte Folded Spill
	s_nop 0
	buffer_store_dword v5, off, s[0:3], s32 offset:144 ; 4-byte Folded Spill
.LBB4_8:
	s_or_b64 exec, exec, s[4:5]
	flat_load_dwordx4 v[4:7], v[2:3] offset:16
	s_mov_b32 s13, 0
	v_mov_b32_e32 v62, 0
	s_waitcnt vmcnt(0) lgkmcnt(0)
	buffer_store_dword v4, off, s[0:3], s32 offset:188 ; 4-byte Folded Spill
	s_nop 0
	buffer_store_dword v5, off, s[0:3], s32 offset:192 ; 4-byte Folded Spill
	buffer_store_dword v6, off, s[0:3], s32 offset:196 ; 4-byte Folded Spill
	;; [unrolled: 1-line block ×3, first 2 shown]
	flat_load_dwordx2 v[15:16], v[2:3] offset:104
	flat_load_ushort v14, v[2:3] offset:8
	flat_load_dword v13, v[2:3] offset:4
	v_mov_b32_e32 v2, 0
	s_waitcnt vmcnt(0) lgkmcnt(0)
	v_cmp_ne_u16_sdwa s[6:7], v15, v2 src0_sel:BYTE_0 src1_sel:DWORD
	s_and_saveexec_b64 s[4:5], s[6:7]
	s_cbranch_execz .LBB4_14
; %bb.9:
	s_movk_i32 s6, 0x80
	v_cmp_ne_u16_sdwa s[10:11], v15, s6 src0_sel:BYTE_0 src1_sel:DWORD
	v_bfrev_b32_e32 v62, 1
	s_and_saveexec_b64 s[6:7], s[10:11]
	s_cbranch_execz .LBB4_13
; %bb.10:
	s_movk_i32 s10, 0x7f
	v_and_b32_e32 v3, 0x7f, v15
	v_cmp_ne_u32_e32 vcc, s10, v3
	v_mov_b32_e32 v62, 0x7f800001
	s_and_saveexec_b64 s[10:11], vcc
	s_cbranch_execz .LBB4_12
; %bb.11:
	v_and_b32_e32 v4, 7, v15
	v_ffbh_u32_e32 v4, v4
	v_min_u32_e32 v4, 32, v4
	v_subrev_u32_e32 v6, 28, v4
	v_cmp_gt_u32_e32 vcc, 8, v3
	v_lshrrev_b32_e32 v5, 3, v3
	v_sub_u32_e32 v4, 29, v4
	v_cndmask_b32_e32 v3, 0, v6, vcc
	v_cndmask_b32_e32 v5, v5, v4, vcc
	v_lshlrev_b64 v[3:4], v3, v[15:16]
	v_lshlrev_b32_e32 v4, 24, v15
	v_lshlrev_b32_e32 v3, 20, v3
	v_bfrev_b32_e32 v6, 60
	v_and_b32_e32 v3, 0x700000, v3
	v_and_b32_e32 v4, 0x80000000, v4
	v_lshl_add_u32 v5, v5, 23, v6
	v_or3_b32 v62, v4, v5, v3
.LBB4_12:
	s_or_b64 exec, exec, s[10:11]
.LBB4_13:
	s_or_b64 exec, exec, s[6:7]
.LBB4_14:
	s_or_b64 exec, exec, s[4:5]
	s_load_dword s4, s[8:9], 0x0
	v_lshrrev_b64 v[3:4], 31, v[13:14]
	v_and_b32_e32 v4, 63, v10
	v_mov_b32_e32 v8, 0
	v_and_b32_e32 v5, 3, v3
	s_waitcnt lgkmcnt(0)
	s_cmp_lt_u32 s12, s4
	s_cselect_b32 s4, 12, 18
	s_add_u32 s4, s8, s4
	s_addc_u32 s5, s9, 0
	global_load_ushort v11, v2, s[4:5]
	s_trap 2
	ds_read_b32 v2, v0
	v_mov_b32_e32 v9, 0
	v_cmp_eq_u32_e64 s[4:5], 0, v4
	s_waitcnt lgkmcnt(0)
	v_cmp_gt_i32_e32 vcc, 0, v2
	v_readfirstlane_b32 s8, v2
	s_cbranch_vccnz .LBB4_16
; %bb.15:
	s_trap 2
	ds_read_b64 v[6:7], v0
	v_mov_b32_e32 v3, 0
	v_lshlrev_b64 v[2:3], 3, v[2:3]
	s_movk_i32 s6, 0xa8
	s_mov_b32 s13, 1
	s_waitcnt lgkmcnt(0)
	v_add_co_u32_e32 v2, vcc, v6, v2
	v_addc_co_u32_e32 v3, vcc, v7, v3, vcc
	flat_load_dwordx2 v[2:3], v[2:3]
	v_and_b32_e32 v6, 0xffff, v5
	s_waitcnt vmcnt(0) lgkmcnt(0)
	v_mad_u64_u32 v[2:3], s[6:7], v6, s6, v[2:3]
	flat_load_dwordx2 v[6:7], v[2:3] offset:504
	v_add_co_u32_e32 v28, vcc, 0x1f8, v2
	v_addc_co_u32_e32 v29, vcc, 0, v3, vcc
	s_waitcnt vmcnt(0) lgkmcnt(0)
	buffer_store_dword v6, off, s[0:3], s32 offset:96 ; 4-byte Folded Spill
	s_nop 0
	buffer_store_dword v7, off, s[0:3], s32 offset:100 ; 4-byte Folded Spill
	flat_load_dwordx2 v[34:35], v[2:3] offset:608
	v_cndmask_b32_e64 v3, 0, v29, s[4:5]
	v_cndmask_b32_e64 v2, 0, v28, s[4:5]
	s_branch .LBB4_17
.LBB4_16:
	v_mov_b32_e32 v28, 0
	v_mov_b32_e32 v2, 0
	;; [unrolled: 1-line block ×4, first 2 shown]
                                        ; implicit-def: $vgpr34_vgpr35
                                        ; implicit-def: $vgpr6_vgpr7
                                        ; kill: killed $vgpr6_vgpr7
.LBB4_17:
	s_trap 2
	ds_read_b32 v13, v0
	s_waitcnt lgkmcnt(0)
	v_cmp_gt_i32_e32 vcc, 0, v13
	s_cbranch_vccnz .LBB4_19
; %bb.18:
	s_trap 2
	ds_read_b64 v[6:7], v0
	v_mov_b32_e32 v14, 0
	v_lshlrev_b64 v[8:9], 3, v[13:14]
	v_and_b32_e32 v5, 0xffff, v5
	s_movk_i32 s4, 0xa8
	s_waitcnt lgkmcnt(0)
	v_add_co_u32_e32 v6, vcc, v6, v8
	v_addc_co_u32_e32 v7, vcc, v7, v9, vcc
	flat_load_dwordx2 v[6:7], v[6:7]
	v_cmp_eq_u32_e32 vcc, 0, v4
	s_waitcnt vmcnt(0) lgkmcnt(0)
	v_mad_u64_u32 v[8:9], s[4:5], v5, s4, v[6:7]
	flat_load_dwordx2 v[5:6], v[8:9]
	v_cndmask_b32_e32 v16, 0, v9, vcc
	v_cndmask_b32_e32 v15, 0, v8, vcc
	s_waitcnt vmcnt(0) lgkmcnt(0)
	buffer_store_dword v5, off, s[0:3], s32 offset:68 ; 4-byte Folded Spill
	s_nop 0
	buffer_store_dword v6, off, s[0:3], s32 offset:72 ; 4-byte Folded Spill
	flat_load_dwordx2 v[21:22], v[8:9] offset:104
	s_branch .LBB4_20
.LBB4_19:
	v_mov_b32_e32 v15, 0
	v_mov_b32_e32 v16, 0
                                        ; implicit-def: $vgpr21_vgpr22
                                        ; implicit-def: $vgpr5_vgpr6
                                        ; kill: killed $vgpr5_vgpr6
.LBB4_20:
	v_subrev_u32_e32 v5, 64, v1
	v_cmp_ge_i32_e32 vcc, v10, v5
	v_cmp_gt_u32_e64 s[4:5], s13, v4
	v_mov_b32_e32 v13, 0
	v_mov_b32_e32 v4, 0
	;; [unrolled: 1-line block ×4, first 2 shown]
	s_and_b64 s[22:23], vcc, s[4:5]
	buffer_store_dword v4, off, s[0:3], s32 offset:88 ; 4-byte Folded Spill
	s_nop 0
	buffer_store_dword v5, off, s[0:3], s32 offset:92 ; 4-byte Folded Spill
                                        ; implicit-def: $vgpr38_vgpr39
	s_and_saveexec_b64 s[4:5], s[22:23]
	s_cbranch_execz .LBB4_22
; %bb.21:
	flat_load_dwordx2 v[4:5], v[2:3] offset:56
	s_waitcnt vmcnt(0) lgkmcnt(0)
	buffer_store_dword v4, off, s[0:3], s32 offset:88 ; 4-byte Folded Spill
	s_nop 0
	buffer_store_dword v5, off, s[0:3], s32 offset:92 ; 4-byte Folded Spill
	flat_load_dwordx2 v[38:39], v[2:3] offset:104
.LBB4_22:
	s_or_b64 exec, exec, s[4:5]
	v_mov_b32_e32 v50, 0
	v_mov_b32_e32 v51, 0
	v_cmp_gt_u32_e64 s[4:5], s13, v10
                                        ; implicit-def: $vgpr52_vgpr53
	s_and_saveexec_b64 s[6:7], s[4:5]
	s_cbranch_execz .LBB4_24
; %bb.23:
	flat_load_dwordx2 v[50:51], v[15:16] offset:56
	s_waitcnt vmcnt(0) lgkmcnt(0)
	flat_load_dwordx2 v[52:53], v[50:51] glc
	s_waitcnt vmcnt(0)
	flat_load_dwordx4 v[13:16], v[15:16] offset:96
.LBB4_24:
	s_or_b64 exec, exec, s[6:7]
	v_mov_b32_e32 v2, 0
	v_cmp_ne_u64_e32 vcc, 0, v[26:27]
	v_mov_b32_e32 v3, 0
	s_and_saveexec_b64 s[24:25], vcc
	s_cbranch_execnz .LBB4_28
; %bb.25:
	s_or_b64 exec, exec, s[24:25]
	s_and_saveexec_b64 s[6:7], s[22:23]
	s_cbranch_execnz .LBB4_1195
.LBB4_26:
	s_or_b64 exec, exec, s[6:7]
	s_and_saveexec_b64 s[6:7], s[4:5]
	s_cbranch_execnz .LBB4_1196
.LBB4_27:
	s_or_b64 exec, exec, s[6:7]
	v_cmp_ne_u32_e32 vcc, 64, v1
	s_and_saveexec_b64 s[4:5], vcc
	s_cbranch_execnz .LBB4_1197
	s_branch .LBB4_1214
.LBB4_28:
	v_add_co_u32_e32 v2, vcc, v17, v24
	s_ashr_i32 s6, s8, 31
	v_addc_co_u32_e32 v3, vcc, v18, v25, vcc
	s_lshr_b32 s6, s6, 29
	v_add_co_u32_e32 v2, vcc, v2, v19
	s_ashr_i32 s21, s20, 31
	s_add_i32 s8, s8, s6
	v_addc_co_u32_e32 v0, vcc, v3, v0, vcc
	s_lshl_b64 s[6:7], s[20:21], 2
	buffer_store_dword v28, off, s[0:3], s32 offset:244 ; 4-byte Folded Spill
	s_nop 0
	buffer_store_dword v29, off, s[0:3], s32 offset:248 ; 4-byte Folded Spill
	buffer_store_dword v8, off, s[0:3], s32 offset:236 ; 4-byte Folded Spill
	s_nop 0
	buffer_store_dword v9, off, s[0:3], s32 offset:240 ; 4-byte Folded Spill
	buffer_store_dword v2, off, s[0:3], s32 offset:80 ; 4-byte Folded Spill
	;; [unrolled: 1-line block ×3, first 2 shown]
	v_mov_b32_e32 v0, s7
	v_add_co_u32_e32 v2, vcc, s6, v60
	v_addc_co_u32_e32 v0, vcc, v61, v0, vcc
	v_add_co_u32_e32 v2, vcc, -4, v2
	v_addc_co_u32_e32 v3, vcc, -1, v0, vcc
	v_and_b32_e32 v0, 63, v31
	v_cmp_eq_u32_e64 s[12:13], 0, v0
	v_lshrrev_b32_e32 v0, 6, v1
	buffer_store_dword v2, off, s[0:3], s32 offset:172 ; 4-byte Folded Spill
	s_nop 0
	buffer_store_dword v3, off, s[0:3], s32 offset:176 ; 4-byte Folded Spill
	s_waitcnt vmcnt(0)
	buffer_store_dword v11, off, s[0:3], s32 offset:232 ; 4-byte Folded Spill
	buffer_store_dword v31, off, s[0:3], s32 offset:228 ; 4-byte Folded Spill
	;; [unrolled: 1-line block ×3, first 2 shown]
	buffer_load_dword v2, off, s[0:3], s32 offset:188 ; 4-byte Folded Reload
	buffer_load_dword v3, off, s[0:3], s32 offset:192 ; 4-byte Folded Reload
	;; [unrolled: 1-line block ×4, first 2 shown]
	v_lshlrev_b32_e32 v8, 3, v10
	s_ashr_i32 s10, s8, 3
	s_and_b32 s21, s10, -16
	v_cmp_ne_u32_e64 s[10:11], 64, v1
	v_cmp_ne_u32_sdwa s[40:41], v1, v11 src0_sel:DWORD src1_sel:WORD_0
	v_lshlrev_b32_e32 v25, 3, v1
	v_mov_b32_e32 v41, 0
	v_mov_b32_e32 v11, v41
	s_ashr_i32 s34, s8, 7
	v_cmp_ne_u64_e64 s[6:7], 0, v[50:51]
	s_waitcnt lgkmcnt(0)
	v_cmp_ne_u64_e64 s[8:9], 0, v[13:14]
	s_cmp_gt_i32 s20, 2
	v_mov_b32_e32 v36, 0
	v_and_b32_e32 v28, 0x1fffff0, v20
	s_mov_b32 s27, 0
	v_mov_b32_e32 v29, v41
	s_mov_b64 s[28:29], 0
	s_cselect_b64 s[42:43], -1, 0
	v_mov_b32_e32 v37, 0
	s_mov_b64 s[44:45], 0x7ffffff8
	s_movk_i32 s35, 0xff
	s_movk_i32 s36, 0x80
	;; [unrolled: 1-line block ×3, first 2 shown]
	s_mov_b64 s[46:47], 0x7f800000
	s_mov_b64 s[56:57], 0x43e00001
	s_movk_i32 s38, 0x7a
	s_mov_b64 s[58:59], 0xffffff
	s_mov_b32 s39, 0xffffff
	v_mov_b32_e32 v54, 0xffffff82
	v_mov_b32_e32 v55, 24
	;; [unrolled: 1-line block ×3, first 2 shown]
	s_waitcnt vmcnt(1)
	v_add_co_u32_e32 v0, vcc, v4, v8
	buffer_store_dword v0, off, s[0:3], s32 offset:204 ; 4-byte Folded Spill
	s_waitcnt vmcnt(1)
	v_addc_co_u32_e32 v0, vcc, 0, v5, vcc
	buffer_store_dword v0, off, s[0:3], s32 offset:208 ; 4-byte Folded Spill
	v_add_co_u32_e32 v0, vcc, v2, v8
	buffer_load_dword v6, off, s[0:3], s32 offset:88 ; 4-byte Folded Reload
	buffer_load_dword v7, off, s[0:3], s32 offset:92 ; 4-byte Folded Reload
	s_waitcnt vmcnt(0)
	v_cmp_ne_u64_e64 s[14:15], 0, v[6:7]
	buffer_store_dword v0, off, s[0:3], s32 offset:212 ; 4-byte Folded Spill
	v_addc_co_u32_e32 v0, vcc, 0, v3, vcc
	buffer_store_dword v0, off, s[0:3], s32 offset:216 ; 4-byte Folded Spill
	buffer_load_dword v2, off, s[0:3], s32 offset:140 ; 4-byte Folded Reload
	buffer_load_dword v3, off, s[0:3], s32 offset:144 ; 4-byte Folded Reload
	v_bfrev_b32_e32 v7, 60
	buffer_store_dword v8, off, s[0:3], s32 offset:136 ; 4-byte Folded Spill
	s_waitcnt vmcnt(2)
	v_add_co_u32_e32 v0, vcc, v2, v4
	s_waitcnt vmcnt(1)
	v_addc_co_u32_e32 v2, vcc, v3, v5, vcc
	v_add_co_u32_e32 v3, vcc, v0, v8
	v_addc_co_u32_e32 v4, vcc, 0, v2, vcc
	v_lshlrev_b32_e32 v0, 6, v1
	buffer_store_dword v3, off, s[0:3], s32 offset:120 ; 4-byte Folded Spill
	s_nop 0
	buffer_store_dword v4, off, s[0:3], s32 offset:124 ; 4-byte Folded Spill
	buffer_store_dword v0, off, s[0:3], s32 offset:76 ; 4-byte Folded Spill
	v_mov_b32_e32 v0, v10
	buffer_store_dword v0, off, s[0:3], s32 offset:60 ; 4-byte Folded Spill
	s_nop 0
	buffer_store_dword v1, off, s[0:3], s32 offset:64 ; 4-byte Folded Spill
	buffer_load_dword v4, off, s[0:3], s32 offset:68 ; 4-byte Folded Reload
	buffer_load_dword v5, off, s[0:3], s32 offset:72 ; 4-byte Folded Reload
	v_lshlrev_b64 v[2:3], 4, v[10:11]
	v_mov_b32_e32 v9, v26
	v_mov_b32_e32 v8, 0x78
	;; [unrolled: 1-line block ×3, first 2 shown]
	s_waitcnt vmcnt(1)
	v_add_co_u32_e32 v0, vcc, v4, v2
	v_mov_b32_e32 v2, v41
	buffer_store_dword v0, off, s[0:3], s32 offset:220 ; 4-byte Folded Spill
	s_waitcnt vmcnt(1)
	v_addc_co_u32_e32 v0, vcc, v5, v3, vcc
	v_lshlrev_b64 v[5:6], 4, v[1:2]
	v_mov_b32_e32 v2, 0
	v_mov_b32_e32 v3, 0
	buffer_store_dword v0, off, s[0:3], s32 offset:224 ; 4-byte Folded Spill
	buffer_store_dword v7, off, s[0:3], s32 offset:148 ; 4-byte Folded Spill
	s_nop 0
	buffer_store_dword v8, off, s[0:3], s32 offset:152 ; 4-byte Folded Spill
	buffer_store_dword v9, off, s[0:3], s32 offset:156 ; 4-byte Folded Spill
	;; [unrolled: 1-line block ×4, first 2 shown]
	s_nop 0
	buffer_store_dword v29, off, s[0:3], s32 offset:168 ; 4-byte Folded Spill
	s_branch .LBB4_30
.LBB4_29:                               ;   in Loop: Header=BB4_30 Depth=1
	s_or_b64 exec, exec, s[16:17]
	buffer_load_dword v9, off, s[0:3], s32 offset:120 ; 4-byte Folded Reload
	buffer_load_dword v10, off, s[0:3], s32 offset:124 ; 4-byte Folded Reload
	v_add_co_u32_e32 v34, vcc, 1, v34
	v_addc_co_u32_e32 v35, vcc, 0, v35, vcc
	v_add_co_u32_e32 v36, vcc, v36, v28
	v_addc_co_u32_e32 v37, vcc, 0, v37, vcc
	s_waitcnt vmcnt(0)
	v_add_co_u32_e32 v9, vcc, v9, v28
	v_addc_co_u32_e32 v10, vcc, 0, v10, vcc
	v_cmp_ge_u64_e32 vcc, v[36:37], v[26:27]
	buffer_store_dword v9, off, s[0:3], s32 offset:120 ; 4-byte Folded Spill
	s_nop 0
	buffer_store_dword v10, off, s[0:3], s32 offset:124 ; 4-byte Folded Spill
	s_or_b64 s[28:29], vcc, s[28:29]
	s_andn2_b64 exec, exec, s[28:29]
	s_cbranch_execz .LBB4_1194
.LBB4_30:                               ; =>This Loop Header: Depth=1
                                        ;     Child Loop BB4_35 Depth 2
                                        ;     Child Loop BB4_54 Depth 2
	;; [unrolled: 1-line block ×5, first 2 shown]
                                        ;       Child Loop BB4_260 Depth 3
                                        ;       Child Loop BB4_279 Depth 3
	;; [unrolled: 1-line block ×3, first 2 shown]
                                        ;         Child Loop BB4_307 Depth 4
                                        ;       Child Loop BB4_723 Depth 3
                                        ;       Child Loop BB4_296 Depth 3
                                        ;     Child Loop BB4_738 Depth 2
                                        ;       Child Loop BB4_746 Depth 3
                                        ;     Child Loop BB4_1181 Depth 2
	buffer_load_dword v9, off, s[0:3], s32 offset:172 ; 4-byte Folded Reload
	buffer_load_dword v10, off, s[0:3], s32 offset:176 ; 4-byte Folded Reload
	s_waitcnt vmcnt(0) lgkmcnt(0)
	flat_load_dword v0, v[9:10]
	v_sub_co_u32_e32 v9, vcc, v26, v36
	v_subb_co_u32_e32 v10, vcc, v27, v37, vcc
	v_cmp_lt_u64_e32 vcc, v[28:29], v[9:10]
	v_cndmask_b32_e32 v4, v9, v28, vcc
	v_lshl_add_u32 v9, v4, 1, 14
	v_and_b32_e32 v9, 0x7fffff0, v9
	buffer_store_dword v9, off, s[0:3], s32 offset:112 ; 4-byte Folded Spill
	s_and_saveexec_b64 s[18:19], s[6:7]
	s_cbranch_execz .LBB4_46
; %bb.31:                               ;   in Loop: Header=BB4_30 Depth=1
	v_add_co_u32_e32 v17, vcc, 1, v15
	v_addc_co_u32_e32 v18, vcc, 0, v16, vcc
	v_add_co_u32_e32 v9, vcc, 8, v52
	v_addc_co_u32_e32 v10, vcc, 0, v53, vcc
	v_cmp_lt_u64_e32 vcc, v[9:10], v[17:18]
	s_and_saveexec_b64 s[60:61], vcc
	s_cbranch_execz .LBB4_43
; %bb.32:                               ;   in Loop: Header=BB4_30 Depth=1
	s_mov_b32 s26, 0
	v_cmp_eq_u32_e32 vcc, 0, v12
	s_mov_b64 s[62:63], 0
                                        ; implicit-def: $sgpr72_sgpr73
                                        ; implicit-def: $sgpr74_sgpr75
                                        ; implicit-def: $sgpr76_sgpr77
	s_branch .LBB4_35
.LBB4_33:                               ;   in Loop: Header=BB4_35 Depth=2
	s_or_b64 exec, exec, s[94:95]
	s_andn2_b64 s[16:17], s[76:77], exec
	s_and_b64 s[76:77], s[90:91], exec
	s_or_b64 s[76:77], s[16:17], s[76:77]
	s_andn2_b64 s[16:17], s[74:75], exec
	s_and_b64 s[74:75], s[88:89], exec
	s_or_b64 s[74:75], s[16:17], s[74:75]
.LBB4_34:                               ;   in Loop: Header=BB4_35 Depth=2
	s_or_b64 exec, exec, s[78:79]
	s_and_b64 s[16:17], exec, s[74:75]
	s_or_b64 s[62:63], s[16:17], s[62:63]
	s_andn2_b64 s[16:17], s[72:73], exec
	s_and_b64 s[72:73], s[76:77], exec
	s_or_b64 s[72:73], s[16:17], s[72:73]
	s_andn2_b64 exec, exec, s[62:63]
	s_cbranch_execz .LBB4_40
.LBB4_35:                               ;   Parent Loop BB4_30 Depth=1
                                        ; =>  This Inner Loop Header: Depth=2
	s_sleep 1
	s_waitcnt vmcnt(0) lgkmcnt(0)
	flat_load_dwordx2 v[52:53], v[50:51] glc
	v_mov_b32_e32 v12, 1
	s_or_b64 s[76:77], s[76:77], exec
	s_or_b64 s[74:75], s[74:75], exec
                                        ; implicit-def: $vgpr9
	s_and_saveexec_b64 s[78:79], vcc
	s_cbranch_execz .LBB4_34
; %bb.36:                               ;   in Loop: Header=BB4_35 Depth=2
	s_add_i32 s26, s26, 1
	s_cmpk_lg_i32 s26, 0x2710
	s_cselect_b64 s[92:93], -1, 0
	s_cmpk_eq_i32 s26, 0x2710
	s_mov_b64 s[88:89], -1
	s_mov_b64 s[90:91], -1
                                        ; implicit-def: $vgpr9
	s_cbranch_scc1 .LBB4_38
; %bb.37:                               ;   in Loop: Header=BB4_35 Depth=2
	v_mov_b32_e32 v12, 1
	s_and_saveexec_b64 s[94:95], s[92:93]
	s_cbranch_execz .LBB4_33
	s_branch .LBB4_39
.LBB4_38:                               ;   in Loop: Header=BB4_35 Depth=2
	s_trap 2
	s_waitcnt vmcnt(0) lgkmcnt(0)
	ds_read_b64 v[9:10], v0
	s_andn2_b64 s[92:93], s[92:93], exec
	s_mov_b32 s26, 0
	s_mov_b64 s[90:91], 0
	s_waitcnt lgkmcnt(0)
	flat_load_dword v9, v[9:10] glc
	s_waitcnt vmcnt(0) lgkmcnt(0)
	buffer_wbinvl1_vol
	v_cmp_eq_u32_e64 s[16:17], 0, v9
	s_and_b64 s[16:17], s[16:17], exec
	s_or_b64 s[92:93], s[92:93], s[16:17]
	v_mov_b32_e32 v12, 1
	s_and_saveexec_b64 s[94:95], s[92:93]
	s_cbranch_execz .LBB4_33
.LBB4_39:                               ;   in Loop: Header=BB4_35 Depth=2
	s_waitcnt vmcnt(0) lgkmcnt(0)
	v_add_co_u32_e64 v10, s[16:17], 8, v52
	v_addc_co_u32_e64 v11, s[16:17], 0, v53, s[16:17]
	v_cmp_ge_u64_e64 s[16:17], v[10:11], v[17:18]
	v_mov_b32_e32 v12, 0
	s_or_b64 s[90:91], s[90:91], exec
	s_orn2_b64 s[88:89], s[16:17], exec
	s_branch .LBB4_33
.LBB4_40:                               ;   in Loop: Header=BB4_30 Depth=1
	s_or_b64 exec, exec, s[62:63]
	s_xor_b64 s[16:17], s[72:73], -1
	s_and_saveexec_b64 s[62:63], s[16:17]
	s_xor_b64 s[16:17], exec, s[62:63]
	s_cbranch_execz .LBB4_42
; %bb.41:                               ;   in Loop: Header=BB4_30 Depth=1
	v_mov_b32_e32 v12, 1
	s_waitcnt vmcnt(0) lgkmcnt(0)
	ds_write_b32 v0, v9
	s_trap 2
.LBB4_42:                               ;   in Loop: Header=BB4_30 Depth=1
	s_or_b64 exec, exec, s[16:17]
.LBB4_43:                               ;   in Loop: Header=BB4_30 Depth=1
	s_or_b64 exec, exec, s[60:61]
	s_and_saveexec_b64 s[16:17], s[8:9]
	s_cbranch_execz .LBB4_45
; %bb.44:                               ;   in Loop: Header=BB4_30 Depth=1
	v_and_b32_e32 v40, 0x7ffffff8, v15
	v_and_b32_e32 v9, 7, v15
	buffer_load_dword v15, off, s[0:3], s32 offset:112 ; 4-byte Folded Reload
	v_mad_u64_u32 v[9:10], s[60:61], v9, 24, v[13:14]
	v_cmp_eq_u64_e32 vcc, s[44:45], v[40:41]
	v_mov_b32_e32 v11, s21
	s_waitcnt vmcnt(0)
	v_cndmask_b32_e32 v15, v15, v11, vcc
	v_ashrrev_i32_e32 v16, 31, v15
	flat_store_dwordx2 v[9:10], v[15:16] offset:8
	s_waitcnt vmcnt(0)
.LBB4_45:                               ;   in Loop: Header=BB4_30 Depth=1
	s_or_b64 exec, exec, s[16:17]
	v_mov_b32_e32 v15, v17
	v_mov_b32_e32 v16, v18
.LBB4_46:                               ;   in Loop: Header=BB4_30 Depth=1
	s_or_b64 exec, exec, s[18:19]
	s_and_saveexec_b64 s[16:17], s[10:11]
	s_cbranch_execz .LBB4_65
; %bb.47:                               ;   in Loop: Header=BB4_30 Depth=1
	s_and_saveexec_b64 s[18:19], s[40:41]
	s_xor_b64 s[18:19], exec, s[18:19]
	s_cbranch_execz .LBB4_62
; %bb.48:                               ;   in Loop: Header=BB4_30 Depth=1
	s_and_saveexec_b64 s[60:61], s[12:13]
	s_cbranch_execz .LBB4_61
; %bb.49:                               ;   in Loop: Header=BB4_30 Depth=1
	s_mov_b64 s[72:73], exec
	v_mbcnt_lo_u32_b32 v9, s72, 0
	v_mbcnt_hi_u32_b32 v9, s73, v9
	v_cmp_eq_u32_e32 vcc, 0, v9
	s_waitcnt vmcnt(0) lgkmcnt(0)
	buffer_wbinvl1_vol
	s_and_saveexec_b64 s[62:63], vcc
	s_cbranch_execz .LBB4_51
; %bb.50:                               ;   in Loop: Header=BB4_30 Depth=1
	s_bcnt1_i32_b64 s26, s[72:73]
	v_mov_b32_e32 v40, s26
	ds_add_u64 v0, v[40:41]
	s_trap 2
.LBB4_51:                               ;   in Loop: Header=BB4_30 Depth=1
	s_or_b64 exec, exec, s[62:63]
	s_trap 2
	ds_read_b64 v[9:10], v0
	s_waitcnt lgkmcnt(0)
	buffer_load_dword v11, off, s[0:3], s32 offset:116 ; 4-byte Folded Reload
	s_waitcnt vmcnt(0)
	v_add_co_u32_e32 v2, vcc, v2, v11
	v_addc_co_u32_e32 v3, vcc, 0, v3, vcc
	v_cmp_lt_u64_e32 vcc, v[9:10], v[2:3]
	s_and_saveexec_b64 s[62:63], vcc
	s_cbranch_execz .LBB4_60
; %bb.52:                               ;   in Loop: Header=BB4_30 Depth=1
	s_mov_b32 s26, 0
	s_mov_b64 s[72:73], 0
                                        ; implicit-def: $sgpr74_sgpr75
                                        ; implicit-def: $sgpr76_sgpr77
	s_branch .LBB4_54
.LBB4_53:                               ;   in Loop: Header=BB4_54 Depth=2
	s_or_b64 exec, exec, s[88:89]
	s_and_b64 s[78:79], exec, s[90:91]
	s_or_b64 s[72:73], s[78:79], s[72:73]
	s_andn2_b64 s[74:75], s[74:75], exec
	s_and_b64 s[78:79], s[76:77], exec
	s_or_b64 s[74:75], s[74:75], s[78:79]
	s_andn2_b64 exec, exec, s[72:73]
	s_cbranch_execz .LBB4_58
.LBB4_54:                               ;   Parent Loop BB4_30 Depth=1
                                        ; =>  This Inner Loop Header: Depth=2
	s_add_i32 s26, s26, 1
	s_cmpk_lg_i32 s26, 0x2710
	s_cselect_b64 s[78:79], -1, 0
	s_and_b64 vcc, exec, s[78:79]
	s_cbranch_vccz .LBB4_56
; %bb.55:                               ;   in Loop: Header=BB4_54 Depth=2
	s_mov_b64 s[90:91], -1
	s_or_b64 s[76:77], s[76:77], exec
	s_and_saveexec_b64 s[88:89], s[78:79]
	s_cbranch_execz .LBB4_53
	s_branch .LBB4_57
.LBB4_56:                               ;   in Loop: Header=BB4_54 Depth=2
	s_trap 2
	ds_read_b64 v[9:10], v0
	s_andn2_b64 s[78:79], s[78:79], exec
	s_mov_b32 s26, 0
	s_waitcnt lgkmcnt(0)
	flat_load_dword v9, v[9:10] glc
	s_waitcnt vmcnt(0) lgkmcnt(0)
	buffer_wbinvl1_vol
	v_cmp_eq_u32_e32 vcc, 0, v9
	s_and_b64 s[88:89], vcc, exec
	s_or_b64 s[78:79], s[78:79], s[88:89]
	s_mov_b64 s[90:91], -1
	s_or_b64 s[76:77], s[76:77], exec
	s_and_saveexec_b64 s[88:89], s[78:79]
	s_cbranch_execz .LBB4_53
.LBB4_57:                               ;   in Loop: Header=BB4_54 Depth=2
	s_sleep 1
	s_trap 2
	ds_read_b64 v[9:10], v0
	s_waitcnt lgkmcnt(0)
	s_andn2_b64 s[76:77], s[76:77], exec
	v_cmp_ge_u64_e32 vcc, v[9:10], v[2:3]
	s_orn2_b64 s[90:91], vcc, exec
	s_branch .LBB4_53
.LBB4_58:                               ;   in Loop: Header=BB4_30 Depth=1
	s_or_b64 exec, exec, s[72:73]
	s_and_saveexec_b64 s[72:73], s[74:75]
	s_xor_b64 s[72:73], exec, s[72:73]
	s_cbranch_execz .LBB4_60
; %bb.59:                               ;   in Loop: Header=BB4_30 Depth=1
	v_mov_b32_e32 v9, 1
	ds_write_b32 v0, v9
	s_trap 2
.LBB4_60:                               ;   in Loop: Header=BB4_30 Depth=1
	s_or_b64 exec, exec, s[62:63]
	;;#ASMSTART
	s_wakeup
	;;#ASMEND
.LBB4_61:                               ;   in Loop: Header=BB4_30 Depth=1
	s_or_b64 exec, exec, s[60:61]
.LBB4_62:                               ;   in Loop: Header=BB4_30 Depth=1
	s_andn2_saveexec_b64 s[18:19], s[18:19]
	s_cbranch_execz .LBB4_64
; %bb.63:                               ;   in Loop: Header=BB4_30 Depth=1
	s_waitcnt vmcnt(0) lgkmcnt(0)
	buffer_wbinvl1_vol
	s_barrier
.LBB4_64:                               ;   in Loop: Header=BB4_30 Depth=1
	s_or_b64 exec, exec, s[18:19]
.LBB4_65:                               ;   in Loop: Header=BB4_30 Depth=1
	s_or_b64 exec, exec, s[16:17]
	buffer_load_dword v9, off, s[0:3], s32 offset:136 ; 4-byte Folded Reload
	buffer_load_dword v29, off, s[0:3], s32 offset:60 ; 4-byte Folded Reload
	;; [unrolled: 1-line block ×3, first 2 shown]
	v_add_u32_e32 v18, 1, v21
	s_waitcnt vmcnt(0)
	v_sub_u32_e32 v48, v4, v9
	v_cmp_lt_i32_e64 s[16:17], 0, v48
	v_and_b32_e32 v9, 7, v21
	s_and_saveexec_b64 s[60:61], s[16:17]
	s_cbranch_execz .LBB4_249
; %bb.66:                               ;   in Loop: Header=BB4_30 Depth=1
	buffer_load_dword v11, off, s[0:3], s32 offset:80 ; 4-byte Folded Reload
	buffer_load_dword v23, off, s[0:3], s32 offset:120 ; 4-byte Folded Reload
	;; [unrolled: 1-line block ×4, first 2 shown]
	s_waitcnt lgkmcnt(0)
	v_ashrrev_i32_e32 v4, 31, v0
	v_mul_lo_u32 v19, v9, s34
	s_mov_b64 s[62:63], 0
	v_ashrrev_i32_e32 v20, 31, v19
	v_lshlrev_b64 v[19:20], 4, v[19:20]
	s_waitcnt vmcnt(3)
	v_mul_lo_u32 v4, v11, v4
	s_waitcnt vmcnt(1)
	v_mad_u64_u32 v[46:47], s[18:19], v11, v0, v[23:24]
	s_waitcnt vmcnt(0)
	v_mul_lo_u32 v10, v10, v0
	v_mul_lo_u32 v0, v11, v0
	v_mov_b32_e32 v11, v48
	v_add3_u32 v47, v10, v47, v4
	v_add_lshl_u32 v10, v23, v0, 3
	buffer_load_dword v0, off, s[0:3], s32 offset:220 ; 4-byte Folded Reload
	s_waitcnt vmcnt(0)
	v_add_co_u32_e32 v56, vcc, v0, v19
	buffer_load_dword v0, off, s[0:3], s32 offset:224 ; 4-byte Folded Reload
	buffer_load_dword v29, off, s[0:3], s32 offset:60 ; 4-byte Folded Reload
	;; [unrolled: 1-line block ×3, first 2 shown]
	s_waitcnt vmcnt(2)
	v_addc_co_u32_e32 v57, vcc, v0, v20, vcc
	s_branch .LBB4_68
.LBB4_67:                               ;   in Loop: Header=BB4_68 Depth=2
	s_or_b64 exec, exec, s[18:19]
	v_lshlrev_b32_e32 v0, 8, v26
	v_lshlrev_b32_e32 v20, 16, v30
	v_or3_b32 v0, v0, v17, v20
	v_lshlrev_b32_e32 v4, 24, v4
	v_lshlrev_b32_e32 v17, 8, v32
	;; [unrolled: 1-line block ×3, first 2 shown]
	v_or3_b32 v20, v17, v31, v20
	v_or3_b32 v17, v0, v4, 0
	buffer_load_dword v0, off, s[0:3], s32 offset:76 ; 4-byte Folded Reload
	v_add_co_u32_e32 v46, vcc, v46, v25
	v_lshlrev_b32_e32 v19, 24, v19
	v_sub_u32_e32 v11, v11, v25
	v_addc_co_u32_e32 v47, vcc, 0, v47, vcc
	v_or3_b32 v19, v20, v19, 0
	v_mov_b32_e32 v20, v18
	v_cmp_gt_i32_e32 vcc, 1, v11
	global_store_dwordx4 v[56:57], v[17:20], off
	s_or_b64 s[62:63], vcc, s[62:63]
	v_add_co_u32_e32 v56, vcc, v56, v5
	v_add_u32_e32 v29, v29, v1
	v_addc_co_u32_e32 v57, vcc, v57, v6, vcc
	s_waitcnt vmcnt(1)
	v_add_u32_e32 v10, v10, v0
	s_andn2_b64 exec, exec, s[62:63]
	s_cbranch_execz .LBB4_248
.LBB4_68:                               ;   Parent Loop BB4_30 Depth=1
                                        ; =>  This Inner Loop Header: Depth=2
	v_and_b32_e32 v19, -4, v46
	v_mov_b32_e32 v20, v47
	global_load_dword v0, v[19:20], off glc slc
	v_min_u32_e32 v4, 8, v11
	v_and_b32_e32 v17, 3, v46
	v_add_u32_e32 v40, v17, v4
	v_cmp_lt_u32_e32 vcc, 4, v40
	v_mov_b32_e32 v31, 0
	v_mov_b32_e32 v32, 0
	s_and_saveexec_b64 s[18:19], vcc
	s_cbranch_execz .LBB4_70
; %bb.69:                               ;   in Loop: Header=BB4_68 Depth=2
	global_load_dword v32, v[19:20], off offset:4 glc slc
.LBB4_70:                               ;   in Loop: Header=BB4_68 Depth=2
	s_or_b64 exec, exec, s[18:19]
	v_cmp_lt_u64_e32 vcc, 8, v[40:41]
	s_and_saveexec_b64 s[18:19], vcc
	s_cbranch_execz .LBB4_72
; %bb.71:                               ;   in Loop: Header=BB4_68 Depth=2
	global_load_dword v31, v[19:20], off offset:8 glc slc
.LBB4_72:                               ;   in Loop: Header=BB4_68 Depth=2
	s_or_b64 exec, exec, s[18:19]
	s_waitcnt vmcnt(0)
	v_alignbit_b32 v40, v32, v0, v10
	v_cmp_ne_u16_sdwa s[72:73], v40, v41 src0_sel:BYTE_0 src1_sel:DWORD
	v_mov_b32_e32 v0, 0
	s_and_saveexec_b64 s[18:19], s[72:73]
	s_cbranch_execz .LBB4_78
; %bb.73:                               ;   in Loop: Header=BB4_68 Depth=2
	v_cmp_ne_u16_sdwa s[74:75], v40, s36 src0_sel:BYTE_0 src1_sel:DWORD
	v_bfrev_b32_e32 v0, 1
	s_and_saveexec_b64 s[72:73], s[74:75]
	s_cbranch_execz .LBB4_77
; %bb.74:                               ;   in Loop: Header=BB4_68 Depth=2
	v_and_b32_e32 v4, 0x7f, v40
	v_cmp_ne_u32_e32 vcc, s37, v4
	v_mov_b32_e32 v0, 0x7f800001
	s_and_saveexec_b64 s[74:75], vcc
	s_cbranch_execz .LBB4_76
; %bb.75:                               ;   in Loop: Header=BB4_68 Depth=2
	v_and_b32_e32 v0, 7, v40
	v_ffbh_u32_e32 v0, v0
	v_min_u32_e32 v0, 32, v0
	v_lshrrev_b32_e32 v17, 3, v4
	v_cmp_gt_u32_e32 vcc, 8, v4
	v_subrev_u32_e32 v4, 28, v0
	v_cndmask_b32_e32 v4, 0, v4, vcc
	v_lshlrev_b64 v[19:20], v4, v[40:41]
	v_sub_u32_e32 v0, 29, v0
	v_cndmask_b32_e32 v0, v17, v0, vcc
	v_lshlrev_b32_e32 v4, 20, v19
	v_lshlrev_b32_e32 v17, 24, v40
	v_and_b32_e32 v4, 0x700000, v4
	v_and_b32_e32 v17, 0x80000000, v17
	v_lshl_add_u32 v0, v0, 23, v7
	v_or3_b32 v0, v17, v0, v4
.LBB4_76:                               ;   in Loop: Header=BB4_68 Depth=2
	s_or_b64 exec, exec, s[74:75]
.LBB4_77:                               ;   in Loop: Header=BB4_68 Depth=2
	s_or_b64 exec, exec, s[72:73]
.LBB4_78:                               ;   in Loop: Header=BB4_68 Depth=2
	s_or_b64 exec, exec, s[18:19]
	v_mul_f32_e32 v4, v62, v0
	v_and_b32_e32 v19, 0x7f800000, v4
	v_mov_b32_e32 v20, v41
	v_cmp_ne_u64_e32 vcc, s[46:47], v[19:20]
                                        ; implicit-def: $vgpr17
	s_and_saveexec_b64 s[18:19], vcc
	s_xor_b64 s[72:73], exec, s[18:19]
	s_cbranch_execz .LBB4_92
; %bb.79:                               ;   in Loop: Header=BB4_68 Depth=2
	v_and_b32_e32 v19, 0x7fffffff, v4
	v_mov_b32_e32 v20, v41
	v_cmp_gt_u64_e32 vcc, s[56:57], v[19:20]
	v_and_b32_sdwa v0, v4, s36 dst_sel:DWORD dst_unused:UNUSED_PAD src0_sel:BYTE_3 src1_sel:DWORD
                                        ; implicit-def: $vgpr17
	s_and_saveexec_b64 s[18:19], vcc
	s_xor_b64 s[74:75], exec, s[18:19]
	s_cbranch_execz .LBB4_89
; %bb.80:                               ;   in Loop: Header=BB4_68 Depth=2
	v_mov_b32_e32 v17, 0
	v_cmp_ne_u32_e32 vcc, 0, v4
	s_and_saveexec_b64 s[76:77], vcc
	s_cbranch_execz .LBB4_88
; %bb.81:                               ;   in Loop: Header=BB4_68 Depth=2
	v_and_b32_e32 v19, 0x7fffff, v4
	v_bfe_u32 v4, v4, 23, 8
	v_cmp_gt_u32_e64 s[18:19], s38, v4
	v_sub_u32_e32 v17, 0x79, v4
	v_cmp_eq_u32_e32 vcc, 0, v4
	v_cndmask_b32_e64 v17, 0, v17, s[18:19]
	v_cndmask_b32_e32 v17, v17, v8, vcc
	v_add_u32_e32 v23, 20, v17
	v_or_b32_e32 v20, 0x800000, v19
	v_lshlrev_b64 v[23:24], v23, -1
	v_cndmask_b32_e32 v19, v20, v19, vcc
	v_mov_b32_e32 v20, v41
	v_add_u32_e32 v26, 19, v17
	v_bfi_b32 v23, v23, 0, v19
	v_lshlrev_b64 v[26:27], v26, 1
	v_lshrrev_b64 v[19:20], v17, v[19:20]
	v_bfi_b32 v24, v24, 0, 0
	v_cmp_eq_u64_e64 s[18:19], v[23:24], v[26:27]
	v_mov_b32_e32 v28, v20
	v_mov_b32_e32 v27, v19
	s_and_saveexec_b64 s[78:79], s[18:19]
; %bb.82:                               ;   in Loop: Header=BB4_68 Depth=2
	v_bfe_u32 v20, v19, 20, 1
	v_add_co_u32_e64 v20, s[18:19], v19, v20
	v_add_co_u32_e64 v27, s[18:19], -1, v20
; %bb.83:                               ;   in Loop: Header=BB4_68 Depth=2
	s_or_b64 exec, exec, s[78:79]
	v_add_u32_e32 v4, 0xffffff81, v4
	v_cndmask_b32_e32 v4, v4, v54, vcc
	v_lshrrev_b32_e32 v20, 23, v19
	v_add3_u32 v23, v17, v4, v20
	v_add_u32_e32 v17, 6, v23
	v_and_b32_e32 v4, 0xfffff, v27
	v_add_u32_e32 v19, v4, v19
	v_mov_b32_e32 v20, v41
	v_cmp_ne_u32_e32 vcc, 0, v17
                                        ; implicit-def: $vgpr4
	s_and_saveexec_b64 s[18:19], vcc
	s_xor_b64 s[18:19], exec, s[18:19]
; %bb.84:                               ;   in Loop: Header=BB4_68 Depth=2
	v_cmp_lt_u64_e32 vcc, s[58:59], v[19:20]
	v_add_u32_e32 v4, 7, v23
	v_cndmask_b32_e32 v4, v17, v4, vcc
	v_cndmask_b32_e64 v17, 0, 1, vcc
	v_lshrrev_b64 v[19:20], v17, v[19:20]
; %bb.85:                               ;   in Loop: Header=BB4_68 Depth=2
	s_andn2_saveexec_b64 s[18:19], s[18:19]
; %bb.86:                               ;   in Loop: Header=BB4_68 Depth=2
	v_bfe_u32 v4, v19, 23, 1
; %bb.87:                               ;   in Loop: Header=BB4_68 Depth=2
	s_or_b64 exec, exec, s[18:19]
	v_lshrrev_b64 v[19:20], 20, v[19:20]
	v_cmp_gt_i32_e32 vcc, 16, v4
	v_cndmask_b32_e32 v20, 0, v20, vcc
	v_cndmask_b32_e32 v19, 7, v19, vcc
	v_cmp_eq_u32_e32 vcc, 0, v4
	v_min_i32_e32 v4, 15, v4
	v_cmp_eq_u64_e64 s[18:19], 0, v[19:20]
	v_lshlrev_b32_e32 v4, 3, v4
	v_and_b32_e32 v4, 0xf8, v4
	v_and_or_b32 v4, v19, 7, v4
	s_and_b64 s[18:19], vcc, s[18:19]
	v_cndmask_b32_e64 v4, v4, 0, s[18:19]
	v_or_b32_e32 v17, v4, v0
.LBB4_88:                               ;   in Loop: Header=BB4_68 Depth=2
	s_or_b64 exec, exec, s[76:77]
                                        ; implicit-def: $vgpr0
.LBB4_89:                               ;   in Loop: Header=BB4_68 Depth=2
	s_andn2_saveexec_b64 s[18:19], s[74:75]
; %bb.90:                               ;   in Loop: Header=BB4_68 Depth=2
	v_or_b32_e32 v17, 0x7e, v0
; %bb.91:                               ;   in Loop: Header=BB4_68 Depth=2
	s_or_b64 exec, exec, s[18:19]
                                        ; implicit-def: $vgpr4
.LBB4_92:                               ;   in Loop: Header=BB4_68 Depth=2
	s_andn2_saveexec_b64 s[18:19], s[72:73]
; %bb.93:                               ;   in Loop: Header=BB4_68 Depth=2
	v_or_b32_sdwa v17, v4, s37 dst_sel:DWORD dst_unused:UNUSED_PAD src0_sel:BYTE_3 src1_sel:DWORD
; %bb.94:                               ;   in Loop: Header=BB4_68 Depth=2
	s_or_b64 exec, exec, s[18:19]
	v_lshrrev_b16_e32 v0, 8, v40
	v_cmp_ne_u16_e32 vcc, 0, v0
	v_mov_b32_e32 v4, 0
	s_and_saveexec_b64 s[18:19], vcc
	s_cbranch_execz .LBB4_100
; %bb.95:                               ;   in Loop: Header=BB4_68 Depth=2
	v_cmp_ne_u16_e32 vcc, s36, v0
	v_bfrev_b32_e32 v4, 1
	s_and_saveexec_b64 s[72:73], vcc
	s_cbranch_execz .LBB4_99
; %bb.96:                               ;   in Loop: Header=BB4_68 Depth=2
	v_and_b32_e32 v19, 0x7f, v0
	v_cmp_ne_u32_e32 vcc, s37, v19
	v_mov_b32_e32 v4, 0x7f800001
	s_and_saveexec_b64 s[74:75], vcc
	s_cbranch_execz .LBB4_98
; %bb.97:                               ;   in Loop: Header=BB4_68 Depth=2
	v_and_b32_e32 v4, 7, v0
	v_lshrrev_b32_e32 v23, 3, v19
	v_cmp_gt_u32_e32 vcc, 8, v19
	v_ffbh_u32_e32 v19, v4
	v_min_u32_e32 v24, 32, v19
	v_subrev_u32_e32 v19, 28, v24
	v_lshlrev_b64 v[19:20], v19, v[0:1]
	v_sub_u32_e32 v0, 29, v24
	v_and_b32_e32 v19, 7, v19
	v_cndmask_b32_e32 v0, v23, v0, vcc
	v_cndmask_b32_e32 v4, v4, v19, vcc
	v_lshlrev_b32_e32 v19, 16, v40
	v_lshlrev_b32_e32 v4, 20, v4
	v_and_b32_e32 v19, 0x80000000, v19
	v_lshl_add_u32 v0, v0, 23, v7
	v_or3_b32 v4, v19, v0, v4
.LBB4_98:                               ;   in Loop: Header=BB4_68 Depth=2
	s_or_b64 exec, exec, s[74:75]
.LBB4_99:                               ;   in Loop: Header=BB4_68 Depth=2
	s_or_b64 exec, exec, s[72:73]
.LBB4_100:                              ;   in Loop: Header=BB4_68 Depth=2
	s_or_b64 exec, exec, s[18:19]
	v_mul_f32_e32 v4, v62, v4
	v_and_b32_e32 v19, 0x7f800000, v4
	v_mov_b32_e32 v20, v41
	v_cmp_ne_u64_e32 vcc, s[46:47], v[19:20]
                                        ; implicit-def: $vgpr26
	s_and_saveexec_b64 s[18:19], vcc
	s_xor_b64 s[72:73], exec, s[18:19]
	s_cbranch_execz .LBB4_114
; %bb.101:                              ;   in Loop: Header=BB4_68 Depth=2
	v_and_b32_e32 v19, 0x7fffffff, v4
	v_mov_b32_e32 v20, v41
	v_cmp_gt_u64_e32 vcc, s[56:57], v[19:20]
	v_and_b32_sdwa v0, v4, s36 dst_sel:DWORD dst_unused:UNUSED_PAD src0_sel:BYTE_3 src1_sel:DWORD
                                        ; implicit-def: $vgpr26
	s_and_saveexec_b64 s[18:19], vcc
	s_xor_b64 s[74:75], exec, s[18:19]
	s_cbranch_execz .LBB4_111
; %bb.102:                              ;   in Loop: Header=BB4_68 Depth=2
	v_mov_b32_e32 v26, 0
	v_cmp_ne_u32_e32 vcc, 0, v4
	s_and_saveexec_b64 s[76:77], vcc
	s_cbranch_execz .LBB4_110
; %bb.103:                              ;   in Loop: Header=BB4_68 Depth=2
	v_and_b32_e32 v19, 0x7fffff, v4
	v_bfe_u32 v4, v4, 23, 8
	v_cmp_gt_u32_e64 s[18:19], s38, v4
	v_sub_u32_e32 v20, 0x79, v4
	v_cmp_eq_u32_e32 vcc, 0, v4
	v_cndmask_b32_e64 v20, 0, v20, s[18:19]
	v_or_b32_e32 v23, 0x800000, v19
	v_cndmask_b32_e32 v26, v20, v8, vcc
	v_cndmask_b32_e32 v19, v23, v19, vcc
	v_add_u32_e32 v23, 20, v26
	v_lshlrev_b64 v[23:24], v23, -1
	v_mov_b32_e32 v20, v41
	v_add_u32_e32 v27, 19, v26
	v_bfi_b32 v23, v23, 0, v19
	v_lshlrev_b64 v[27:28], v27, 1
	v_lshrrev_b64 v[19:20], v26, v[19:20]
	v_bfi_b32 v24, v24, 0, 0
	v_cmp_eq_u64_e64 s[18:19], v[23:24], v[27:28]
	v_mov_b32_e32 v28, v20
	v_mov_b32_e32 v27, v19
	s_and_saveexec_b64 s[78:79], s[18:19]
; %bb.104:                              ;   in Loop: Header=BB4_68 Depth=2
	v_bfe_u32 v20, v19, 20, 1
	v_add_co_u32_e64 v20, s[18:19], v19, v20
	v_add_co_u32_e64 v27, s[18:19], -1, v20
; %bb.105:                              ;   in Loop: Header=BB4_68 Depth=2
	s_or_b64 exec, exec, s[78:79]
	v_add_u32_e32 v4, 0xffffff81, v4
	v_cndmask_b32_e32 v4, v4, v54, vcc
	v_lshrrev_b32_e32 v20, 23, v19
	v_add3_u32 v24, v26, v4, v20
	v_add_u32_e32 v23, 6, v24
	v_and_b32_e32 v4, 0xfffff, v27
	v_add_u32_e32 v19, v4, v19
	v_mov_b32_e32 v20, v41
	v_cmp_ne_u32_e32 vcc, 0, v23
                                        ; implicit-def: $vgpr4
	s_and_saveexec_b64 s[18:19], vcc
	s_xor_b64 s[18:19], exec, s[18:19]
; %bb.106:                              ;   in Loop: Header=BB4_68 Depth=2
	v_cmp_lt_u64_e32 vcc, s[58:59], v[19:20]
	v_add_u32_e32 v4, 7, v24
	v_cndmask_b32_e32 v4, v23, v4, vcc
	v_cndmask_b32_e64 v23, 0, 1, vcc
	v_lshrrev_b64 v[19:20], v23, v[19:20]
; %bb.107:                              ;   in Loop: Header=BB4_68 Depth=2
	s_andn2_saveexec_b64 s[18:19], s[18:19]
; %bb.108:                              ;   in Loop: Header=BB4_68 Depth=2
	v_bfe_u32 v4, v19, 23, 1
; %bb.109:                              ;   in Loop: Header=BB4_68 Depth=2
	s_or_b64 exec, exec, s[18:19]
	v_lshrrev_b64 v[19:20], 20, v[19:20]
	v_cmp_gt_i32_e32 vcc, 16, v4
	v_cndmask_b32_e32 v20, 0, v20, vcc
	v_cndmask_b32_e32 v19, 7, v19, vcc
	v_cmp_eq_u32_e32 vcc, 0, v4
	v_min_i32_e32 v4, 15, v4
	v_cmp_eq_u64_e64 s[18:19], 0, v[19:20]
	v_lshlrev_b32_e32 v4, 3, v4
	v_and_b32_e32 v4, 0xf8, v4
	v_and_or_b32 v4, v19, 7, v4
	s_and_b64 s[18:19], vcc, s[18:19]
	v_cndmask_b32_e64 v4, v4, 0, s[18:19]
	v_or_b32_e32 v26, v4, v0
.LBB4_110:                              ;   in Loop: Header=BB4_68 Depth=2
	s_or_b64 exec, exec, s[76:77]
                                        ; implicit-def: $vgpr0
.LBB4_111:                              ;   in Loop: Header=BB4_68 Depth=2
	s_andn2_saveexec_b64 s[18:19], s[74:75]
; %bb.112:                              ;   in Loop: Header=BB4_68 Depth=2
	v_or_b32_e32 v26, 0x7e, v0
; %bb.113:                              ;   in Loop: Header=BB4_68 Depth=2
	s_or_b64 exec, exec, s[18:19]
                                        ; implicit-def: $vgpr4
.LBB4_114:                              ;   in Loop: Header=BB4_68 Depth=2
	s_andn2_saveexec_b64 s[18:19], s[72:73]
; %bb.115:                              ;   in Loop: Header=BB4_68 Depth=2
	v_or_b32_sdwa v26, v4, s37 dst_sel:DWORD dst_unused:UNUSED_PAD src0_sel:BYTE_3 src1_sel:DWORD
; %bb.116:                              ;   in Loop: Header=BB4_68 Depth=2
	s_or_b64 exec, exec, s[18:19]
	v_and_b32_sdwa v19, v40, s35 dst_sel:DWORD dst_unused:UNUSED_PAD src0_sel:WORD_1 src1_sel:DWORD
	v_lshrrev_b32_e32 v0, 16, v40
	v_cmp_ne_u16_e32 vcc, 0, v19
	v_mov_b32_e32 v4, 0
	s_and_saveexec_b64 s[18:19], vcc
	s_cbranch_execz .LBB4_122
; %bb.117:                              ;   in Loop: Header=BB4_68 Depth=2
	v_cmp_ne_u16_e32 vcc, s36, v19
	v_bfrev_b32_e32 v4, 1
	s_and_saveexec_b64 s[72:73], vcc
	s_cbranch_execz .LBB4_121
; %bb.118:                              ;   in Loop: Header=BB4_68 Depth=2
	v_bfe_u32 v19, v40, 16, 7
	v_cmp_ne_u32_e32 vcc, s37, v19
	v_mov_b32_e32 v4, 0x7f800001
	s_and_saveexec_b64 s[74:75], vcc
	s_cbranch_execz .LBB4_120
; %bb.119:                              ;   in Loop: Header=BB4_68 Depth=2
	v_and_b32_e32 v4, 7, v0
	v_lshrrev_b32_e32 v23, 3, v19
	v_cmp_gt_u32_e32 vcc, 8, v19
	v_ffbh_u32_e32 v19, v4
	v_min_u32_e32 v24, 32, v19
	v_subrev_u32_e32 v19, 28, v24
	v_lshlrev_b64 v[19:20], v19, v[0:1]
	v_sub_u32_e32 v0, 29, v24
	v_and_b32_e32 v19, 7, v19
	v_cndmask_b32_e32 v0, v23, v0, vcc
	v_cndmask_b32_e32 v4, v4, v19, vcc
	v_lshlrev_b32_sdwa v19, v55, v40 dst_sel:DWORD dst_unused:UNUSED_PAD src0_sel:DWORD src1_sel:WORD_1
	v_lshlrev_b32_e32 v4, 20, v4
	v_and_b32_e32 v19, 0x80000000, v19
	v_lshl_add_u32 v0, v0, 23, v7
	v_or3_b32 v4, v19, v0, v4
.LBB4_120:                              ;   in Loop: Header=BB4_68 Depth=2
	s_or_b64 exec, exec, s[74:75]
.LBB4_121:                              ;   in Loop: Header=BB4_68 Depth=2
	s_or_b64 exec, exec, s[72:73]
.LBB4_122:                              ;   in Loop: Header=BB4_68 Depth=2
	s_or_b64 exec, exec, s[18:19]
	v_mul_f32_e32 v4, v62, v4
	v_and_b32_e32 v19, 0x7f800000, v4
	v_mov_b32_e32 v20, v41
	v_cmp_ne_u64_e32 vcc, s[46:47], v[19:20]
                                        ; implicit-def: $vgpr30
	s_and_saveexec_b64 s[18:19], vcc
	s_xor_b64 s[72:73], exec, s[18:19]
	s_cbranch_execz .LBB4_136
; %bb.123:                              ;   in Loop: Header=BB4_68 Depth=2
	v_and_b32_e32 v19, 0x7fffffff, v4
	v_mov_b32_e32 v20, v41
	v_cmp_gt_u64_e32 vcc, s[56:57], v[19:20]
	v_and_b32_sdwa v0, v4, s36 dst_sel:DWORD dst_unused:UNUSED_PAD src0_sel:BYTE_3 src1_sel:DWORD
                                        ; implicit-def: $vgpr30
	s_and_saveexec_b64 s[18:19], vcc
	s_xor_b64 s[74:75], exec, s[18:19]
	s_cbranch_execz .LBB4_133
; %bb.124:                              ;   in Loop: Header=BB4_68 Depth=2
	v_mov_b32_e32 v30, 0
	v_cmp_ne_u32_e32 vcc, 0, v4
	s_and_saveexec_b64 s[76:77], vcc
	s_cbranch_execz .LBB4_132
; %bb.125:                              ;   in Loop: Header=BB4_68 Depth=2
	v_and_b32_e32 v19, 0x7fffff, v4
	v_bfe_u32 v4, v4, 23, 8
	v_cmp_gt_u32_e64 s[18:19], s38, v4
	v_sub_u32_e32 v20, 0x79, v4
	v_cmp_eq_u32_e32 vcc, 0, v4
	v_cndmask_b32_e64 v20, 0, v20, s[18:19]
	v_or_b32_e32 v23, 0x800000, v19
	v_cndmask_b32_e32 v30, v20, v8, vcc
	v_cndmask_b32_e32 v19, v23, v19, vcc
	v_add_u32_e32 v23, 20, v30
	v_lshlrev_b64 v[23:24], v23, -1
	v_mov_b32_e32 v20, v41
	v_add_u32_e32 v27, 19, v30
	v_bfi_b32 v23, v23, 0, v19
	v_lshlrev_b64 v[27:28], v27, 1
	v_lshrrev_b64 v[19:20], v30, v[19:20]
	v_bfi_b32 v24, v24, 0, 0
	v_cmp_eq_u64_e64 s[18:19], v[23:24], v[27:28]
	v_mov_b32_e32 v28, v20
	v_mov_b32_e32 v27, v19
	s_and_saveexec_b64 s[78:79], s[18:19]
; %bb.126:                              ;   in Loop: Header=BB4_68 Depth=2
	v_bfe_u32 v20, v19, 20, 1
	v_add_co_u32_e64 v20, s[18:19], v19, v20
	v_add_co_u32_e64 v27, s[18:19], -1, v20
; %bb.127:                              ;   in Loop: Header=BB4_68 Depth=2
	s_or_b64 exec, exec, s[78:79]
	v_add_u32_e32 v4, 0xffffff81, v4
	v_cndmask_b32_e32 v4, v4, v54, vcc
	v_lshrrev_b32_e32 v20, 23, v19
	v_add3_u32 v24, v30, v4, v20
	v_add_u32_e32 v23, 6, v24
	v_and_b32_e32 v4, 0xfffff, v27
	v_add_u32_e32 v19, v4, v19
	v_mov_b32_e32 v20, v41
	v_cmp_ne_u32_e32 vcc, 0, v23
                                        ; implicit-def: $vgpr4
	s_and_saveexec_b64 s[18:19], vcc
	s_xor_b64 s[18:19], exec, s[18:19]
; %bb.128:                              ;   in Loop: Header=BB4_68 Depth=2
	v_cmp_lt_u64_e32 vcc, s[58:59], v[19:20]
	v_add_u32_e32 v4, 7, v24
	v_cndmask_b32_e32 v4, v23, v4, vcc
	v_cndmask_b32_e64 v23, 0, 1, vcc
	v_lshrrev_b64 v[19:20], v23, v[19:20]
; %bb.129:                              ;   in Loop: Header=BB4_68 Depth=2
	s_andn2_saveexec_b64 s[18:19], s[18:19]
; %bb.130:                              ;   in Loop: Header=BB4_68 Depth=2
	v_bfe_u32 v4, v19, 23, 1
; %bb.131:                              ;   in Loop: Header=BB4_68 Depth=2
	s_or_b64 exec, exec, s[18:19]
	v_lshrrev_b64 v[19:20], 20, v[19:20]
	v_cmp_gt_i32_e32 vcc, 16, v4
	v_cndmask_b32_e32 v20, 0, v20, vcc
	v_cndmask_b32_e32 v19, 7, v19, vcc
	v_cmp_eq_u32_e32 vcc, 0, v4
	v_min_i32_e32 v4, 15, v4
	v_cmp_eq_u64_e64 s[18:19], 0, v[19:20]
	v_lshlrev_b32_e32 v4, 3, v4
	v_and_b32_e32 v4, 0xf8, v4
	v_and_or_b32 v4, v19, 7, v4
	s_and_b64 s[18:19], vcc, s[18:19]
	v_cndmask_b32_e64 v4, v4, 0, s[18:19]
	v_or_b32_e32 v30, v4, v0
.LBB4_132:                              ;   in Loop: Header=BB4_68 Depth=2
	s_or_b64 exec, exec, s[76:77]
                                        ; implicit-def: $vgpr0
.LBB4_133:                              ;   in Loop: Header=BB4_68 Depth=2
	s_andn2_saveexec_b64 s[18:19], s[74:75]
; %bb.134:                              ;   in Loop: Header=BB4_68 Depth=2
	v_or_b32_e32 v30, 0x7e, v0
; %bb.135:                              ;   in Loop: Header=BB4_68 Depth=2
	s_or_b64 exec, exec, s[18:19]
                                        ; implicit-def: $vgpr4
.LBB4_136:                              ;   in Loop: Header=BB4_68 Depth=2
	s_andn2_saveexec_b64 s[18:19], s[72:73]
; %bb.137:                              ;   in Loop: Header=BB4_68 Depth=2
	v_or_b32_sdwa v30, v4, s37 dst_sel:DWORD dst_unused:UNUSED_PAD src0_sel:BYTE_3 src1_sel:DWORD
; %bb.138:                              ;   in Loop: Header=BB4_68 Depth=2
	s_or_b64 exec, exec, s[18:19]
	v_cmp_lt_u32_e32 vcc, s39, v40
	v_mov_b32_e32 v4, 0
	s_and_saveexec_b64 s[18:19], vcc
	s_cbranch_execz .LBB4_144
; %bb.139:                              ;   in Loop: Header=BB4_68 Depth=2
	v_lshrrev_b32_e32 v0, 24, v40
	v_cmp_ne_u32_sdwa s[74:75], v40, s36 src0_sel:BYTE_3 src1_sel:DWORD
	v_bfrev_b32_e32 v4, 1
	s_and_saveexec_b64 s[72:73], s[74:75]
	s_cbranch_execz .LBB4_143
; %bb.140:                              ;   in Loop: Header=BB4_68 Depth=2
	v_bfe_u32 v19, v40, 24, 7
	v_cmp_ne_u32_e32 vcc, s37, v19
	v_mov_b32_e32 v4, 0x7f800001
	s_and_saveexec_b64 s[74:75], vcc
	s_cbranch_execz .LBB4_142
; %bb.141:                              ;   in Loop: Header=BB4_68 Depth=2
	v_and_b32_e32 v4, 7, v0
	v_lshrrev_b32_e32 v23, 3, v19
	v_cmp_gt_u32_e32 vcc, 8, v19
	v_ffbh_u32_e32 v19, v4
	v_min_u32_e32 v24, 32, v19
	v_subrev_u32_e32 v19, 28, v24
	v_lshlrev_b64 v[19:20], v19, v[0:1]
	v_sub_u32_e32 v0, 29, v24
	v_and_b32_e32 v19, 7, v19
	v_cndmask_b32_e32 v0, v23, v0, vcc
	v_cndmask_b32_e32 v4, v4, v19, vcc
	v_lshlrev_b32_sdwa v19, v55, v40 dst_sel:DWORD dst_unused:UNUSED_PAD src0_sel:DWORD src1_sel:BYTE_3
	v_lshlrev_b32_e32 v4, 20, v4
	v_and_b32_e32 v19, 0x80000000, v19
	v_lshl_add_u32 v0, v0, 23, v7
	v_or3_b32 v4, v19, v0, v4
.LBB4_142:                              ;   in Loop: Header=BB4_68 Depth=2
	s_or_b64 exec, exec, s[74:75]
.LBB4_143:                              ;   in Loop: Header=BB4_68 Depth=2
	s_or_b64 exec, exec, s[72:73]
.LBB4_144:                              ;   in Loop: Header=BB4_68 Depth=2
	s_or_b64 exec, exec, s[18:19]
	v_mul_f32_e32 v19, v62, v4
	v_and_b32_e32 v40, 0x7f800000, v19
	v_cmp_ne_u64_e32 vcc, s[46:47], v[40:41]
                                        ; implicit-def: $vgpr4
	s_and_saveexec_b64 s[18:19], vcc
	s_xor_b64 s[72:73], exec, s[18:19]
	s_cbranch_execz .LBB4_158
; %bb.145:                              ;   in Loop: Header=BB4_68 Depth=2
	v_and_b32_e32 v40, 0x7fffffff, v19
	v_cmp_gt_u64_e32 vcc, s[56:57], v[40:41]
	v_and_b32_sdwa v0, v19, s36 dst_sel:DWORD dst_unused:UNUSED_PAD src0_sel:BYTE_3 src1_sel:DWORD
                                        ; implicit-def: $vgpr4
	s_and_saveexec_b64 s[18:19], vcc
	s_xor_b64 s[74:75], exec, s[18:19]
	s_cbranch_execz .LBB4_155
; %bb.146:                              ;   in Loop: Header=BB4_68 Depth=2
	v_mov_b32_e32 v4, 0
	v_cmp_ne_u32_e32 vcc, 0, v19
	s_and_saveexec_b64 s[76:77], vcc
	s_cbranch_execz .LBB4_154
; %bb.147:                              ;   in Loop: Header=BB4_68 Depth=2
	v_bfe_u32 v4, v19, 23, 8
	v_and_b32_e32 v20, 0x7fffff, v19
	v_cmp_gt_u32_e64 s[18:19], s38, v4
	v_sub_u32_e32 v19, 0x79, v4
	v_cmp_eq_u32_e32 vcc, 0, v4
	v_cndmask_b32_e64 v19, 0, v19, s[18:19]
	v_cndmask_b32_e32 v33, v19, v8, vcc
	v_or_b32_e32 v23, 0x800000, v20
	v_add_u32_e32 v19, 20, v33
	v_cndmask_b32_e32 v40, v23, v20, vcc
	v_lshlrev_b64 v[19:20], v19, -1
	v_add_u32_e32 v23, 19, v33
	v_lshlrev_b64 v[23:24], v23, 1
	v_bfi_b32 v20, v20, 0, 0
	v_bfi_b32 v19, v19, 0, v40
	v_cmp_eq_u64_e64 s[18:19], v[19:20], v[23:24]
	v_lshrrev_b64 v[19:20], v33, v[40:41]
	v_mov_b32_e32 v28, v20
	v_mov_b32_e32 v27, v19
	s_and_saveexec_b64 s[78:79], s[18:19]
; %bb.148:                              ;   in Loop: Header=BB4_68 Depth=2
	v_bfe_u32 v20, v19, 20, 1
	v_add_co_u32_e64 v20, s[18:19], v19, v20
	v_add_co_u32_e64 v27, s[18:19], -1, v20
; %bb.149:                              ;   in Loop: Header=BB4_68 Depth=2
	s_or_b64 exec, exec, s[78:79]
	v_add_u32_e32 v4, 0xffffff81, v4
	v_cndmask_b32_e32 v4, v4, v54, vcc
	v_lshrrev_b32_e32 v20, 23, v19
	v_add3_u32 v24, v33, v4, v20
	v_add_u32_e32 v23, 6, v24
	v_and_b32_e32 v4, 0xfffff, v27
	v_add_u32_e32 v40, v4, v19
	v_cmp_ne_u32_e32 vcc, 0, v23
                                        ; implicit-def: $vgpr19_vgpr20
                                        ; implicit-def: $vgpr4
	s_and_saveexec_b64 s[18:19], vcc
	s_xor_b64 s[18:19], exec, s[18:19]
; %bb.150:                              ;   in Loop: Header=BB4_68 Depth=2
	v_cmp_lt_u64_e32 vcc, s[58:59], v[40:41]
	v_add_u32_e32 v4, 7, v24
	v_cndmask_b32_e64 v19, 0, 1, vcc
	v_cndmask_b32_e32 v4, v23, v4, vcc
	v_lshrrev_b64 v[19:20], v19, v[40:41]
; %bb.151:                              ;   in Loop: Header=BB4_68 Depth=2
	s_andn2_saveexec_b64 s[18:19], s[18:19]
; %bb.152:                              ;   in Loop: Header=BB4_68 Depth=2
	v_mov_b32_e32 v19, v40
	v_bfe_u32 v4, v40, 23, 1
	v_mov_b32_e32 v20, v41
; %bb.153:                              ;   in Loop: Header=BB4_68 Depth=2
	s_or_b64 exec, exec, s[18:19]
	v_lshrrev_b64 v[19:20], 20, v[19:20]
	v_cmp_gt_i32_e32 vcc, 16, v4
	v_cndmask_b32_e32 v20, 0, v20, vcc
	v_cndmask_b32_e32 v19, 7, v19, vcc
	v_cmp_eq_u32_e32 vcc, 0, v4
	v_min_i32_e32 v4, 15, v4
	v_cmp_eq_u64_e64 s[18:19], 0, v[19:20]
	v_lshlrev_b32_e32 v4, 3, v4
	v_and_b32_e32 v4, 0xf8, v4
	v_and_or_b32 v4, v19, 7, v4
	s_and_b64 s[18:19], vcc, s[18:19]
	v_cndmask_b32_e64 v4, v4, 0, s[18:19]
	v_or_b32_e32 v4, v4, v0
.LBB4_154:                              ;   in Loop: Header=BB4_68 Depth=2
	s_or_b64 exec, exec, s[76:77]
                                        ; implicit-def: $vgpr0
.LBB4_155:                              ;   in Loop: Header=BB4_68 Depth=2
	s_andn2_saveexec_b64 s[18:19], s[74:75]
; %bb.156:                              ;   in Loop: Header=BB4_68 Depth=2
	v_or_b32_e32 v4, 0x7e, v0
; %bb.157:                              ;   in Loop: Header=BB4_68 Depth=2
	s_or_b64 exec, exec, s[18:19]
                                        ; implicit-def: $vgpr19
.LBB4_158:                              ;   in Loop: Header=BB4_68 Depth=2
	s_andn2_saveexec_b64 s[18:19], s[72:73]
; %bb.159:                              ;   in Loop: Header=BB4_68 Depth=2
	v_or_b32_sdwa v4, v19, s37 dst_sel:DWORD dst_unused:UNUSED_PAD src0_sel:BYTE_3 src1_sel:DWORD
; %bb.160:                              ;   in Loop: Header=BB4_68 Depth=2
	s_or_b64 exec, exec, s[18:19]
	v_alignbit_b32 v40, v31, v32, v10
	v_cmp_ne_u16_sdwa s[72:73], v40, v41 src0_sel:BYTE_0 src1_sel:DWORD
	v_mov_b32_e32 v0, 0
	s_and_saveexec_b64 s[18:19], s[72:73]
	s_cbranch_execz .LBB4_166
; %bb.161:                              ;   in Loop: Header=BB4_68 Depth=2
	v_cmp_ne_u16_sdwa s[74:75], v40, s36 src0_sel:BYTE_0 src1_sel:DWORD
	v_bfrev_b32_e32 v0, 1
	s_and_saveexec_b64 s[72:73], s[74:75]
	s_cbranch_execz .LBB4_165
; %bb.162:                              ;   in Loop: Header=BB4_68 Depth=2
	v_and_b32_e32 v19, 0x7f, v40
	v_cmp_ne_u32_e32 vcc, s37, v19
	v_mov_b32_e32 v0, 0x7f800001
	s_and_saveexec_b64 s[74:75], vcc
	s_cbranch_execz .LBB4_164
; %bb.163:                              ;   in Loop: Header=BB4_68 Depth=2
	v_and_b32_e32 v0, 7, v40
	v_ffbh_u32_e32 v0, v0
	v_min_u32_e32 v0, 32, v0
	v_lshrrev_b32_e32 v20, 3, v19
	v_cmp_gt_u32_e32 vcc, 8, v19
	v_subrev_u32_e32 v19, 28, v0
	v_sub_u32_e32 v0, 29, v0
	v_cndmask_b32_e32 v19, 0, v19, vcc
	v_cndmask_b32_e32 v0, v20, v0, vcc
	v_lshlrev_b64 v[19:20], v19, v[40:41]
	v_lshlrev_b32_e32 v20, 24, v40
	v_lshlrev_b32_e32 v19, 20, v19
	v_and_b32_e32 v19, 0x700000, v19
	v_and_b32_e32 v20, 0x80000000, v20
	v_lshl_add_u32 v0, v0, 23, v7
	v_or3_b32 v0, v20, v0, v19
.LBB4_164:                              ;   in Loop: Header=BB4_68 Depth=2
	s_or_b64 exec, exec, s[74:75]
.LBB4_165:                              ;   in Loop: Header=BB4_68 Depth=2
	s_or_b64 exec, exec, s[72:73]
.LBB4_166:                              ;   in Loop: Header=BB4_68 Depth=2
	s_or_b64 exec, exec, s[18:19]
	v_mul_f32_e32 v19, v62, v0
	v_and_b32_e32 v23, 0x7f800000, v19
	v_mov_b32_e32 v24, v41
	v_cmp_ne_u64_e32 vcc, s[46:47], v[23:24]
                                        ; implicit-def: $vgpr31
	s_and_saveexec_b64 s[18:19], vcc
	s_xor_b64 s[72:73], exec, s[18:19]
	s_cbranch_execz .LBB4_180
; %bb.167:                              ;   in Loop: Header=BB4_68 Depth=2
	v_and_b32_e32 v23, 0x7fffffff, v19
	v_mov_b32_e32 v24, v41
	v_cmp_gt_u64_e32 vcc, s[56:57], v[23:24]
	v_and_b32_sdwa v0, v19, s36 dst_sel:DWORD dst_unused:UNUSED_PAD src0_sel:BYTE_3 src1_sel:DWORD
                                        ; implicit-def: $vgpr31
	s_and_saveexec_b64 s[18:19], vcc
	s_xor_b64 s[74:75], exec, s[18:19]
	s_cbranch_execz .LBB4_177
; %bb.168:                              ;   in Loop: Header=BB4_68 Depth=2
	v_mov_b32_e32 v31, 0
	v_cmp_ne_u32_e32 vcc, 0, v19
	s_and_saveexec_b64 s[76:77], vcc
	s_cbranch_execz .LBB4_176
; %bb.169:                              ;   in Loop: Header=BB4_68 Depth=2
	v_bfe_u32 v31, v19, 23, 8
	v_and_b32_e32 v20, 0x7fffff, v19
	v_cmp_gt_u32_e64 s[18:19], s38, v31
	v_sub_u32_e32 v19, 0x79, v31
	v_cmp_eq_u32_e32 vcc, 0, v31
	v_cndmask_b32_e64 v19, 0, v19, s[18:19]
	v_or_b32_e32 v23, 0x800000, v20
	v_cndmask_b32_e32 v32, v19, v8, vcc
	v_cndmask_b32_e32 v19, v23, v20, vcc
	v_add_u32_e32 v23, 20, v32
	v_lshlrev_b64 v[23:24], v23, -1
	v_mov_b32_e32 v20, v41
	v_add_u32_e32 v27, 19, v32
	v_bfi_b32 v23, v23, 0, v19
	v_lshlrev_b64 v[27:28], v27, 1
	v_lshrrev_b64 v[19:20], v32, v[19:20]
	v_bfi_b32 v24, v24, 0, 0
	v_cmp_eq_u64_e64 s[18:19], v[23:24], v[27:28]
	v_mov_b32_e32 v28, v20
	v_mov_b32_e32 v27, v19
	s_and_saveexec_b64 s[78:79], s[18:19]
; %bb.170:                              ;   in Loop: Header=BB4_68 Depth=2
	v_bfe_u32 v20, v19, 20, 1
	v_add_co_u32_e64 v20, s[18:19], v19, v20
	v_add_co_u32_e64 v27, s[18:19], -1, v20
; %bb.171:                              ;   in Loop: Header=BB4_68 Depth=2
	s_or_b64 exec, exec, s[78:79]
	v_add_u32_e32 v20, 0xffffff81, v31
	v_cndmask_b32_e32 v20, v20, v54, vcc
	v_lshrrev_b32_e32 v23, 23, v19
	v_add3_u32 v24, v32, v20, v23
	v_add_u32_e32 v23, 6, v24
	v_and_b32_e32 v20, 0xfffff, v27
	v_add_u32_e32 v19, v20, v19
	v_mov_b32_e32 v20, v41
	v_cmp_ne_u32_e32 vcc, 0, v23
                                        ; implicit-def: $vgpr27
	s_and_saveexec_b64 s[18:19], vcc
	s_xor_b64 s[18:19], exec, s[18:19]
; %bb.172:                              ;   in Loop: Header=BB4_68 Depth=2
	v_cmp_lt_u64_e32 vcc, s[58:59], v[19:20]
	v_add_u32_e32 v24, 7, v24
	v_cndmask_b32_e32 v27, v23, v24, vcc
	v_cndmask_b32_e64 v23, 0, 1, vcc
	v_lshrrev_b64 v[19:20], v23, v[19:20]
; %bb.173:                              ;   in Loop: Header=BB4_68 Depth=2
	s_andn2_saveexec_b64 s[18:19], s[18:19]
; %bb.174:                              ;   in Loop: Header=BB4_68 Depth=2
	v_bfe_u32 v27, v19, 23, 1
; %bb.175:                              ;   in Loop: Header=BB4_68 Depth=2
	s_or_b64 exec, exec, s[18:19]
	v_lshrrev_b64 v[19:20], 20, v[19:20]
	v_cmp_gt_i32_e32 vcc, 16, v27
	v_cndmask_b32_e32 v20, 0, v20, vcc
	v_cndmask_b32_e32 v19, 7, v19, vcc
	v_cmp_eq_u64_e64 s[18:19], 0, v[19:20]
	v_min_i32_e32 v20, 15, v27
	v_lshlrev_b32_e32 v20, 3, v20
	v_cmp_eq_u32_e32 vcc, 0, v27
	v_and_b32_e32 v20, 0xf8, v20
	v_and_or_b32 v19, v19, 7, v20
	s_and_b64 s[18:19], vcc, s[18:19]
	v_cndmask_b32_e64 v19, v19, 0, s[18:19]
	v_or_b32_e32 v31, v19, v0
.LBB4_176:                              ;   in Loop: Header=BB4_68 Depth=2
	s_or_b64 exec, exec, s[76:77]
                                        ; implicit-def: $vgpr0
.LBB4_177:                              ;   in Loop: Header=BB4_68 Depth=2
	s_andn2_saveexec_b64 s[18:19], s[74:75]
; %bb.178:                              ;   in Loop: Header=BB4_68 Depth=2
	v_or_b32_e32 v31, 0x7e, v0
; %bb.179:                              ;   in Loop: Header=BB4_68 Depth=2
	s_or_b64 exec, exec, s[18:19]
                                        ; implicit-def: $vgpr19
.LBB4_180:                              ;   in Loop: Header=BB4_68 Depth=2
	s_andn2_saveexec_b64 s[18:19], s[72:73]
; %bb.181:                              ;   in Loop: Header=BB4_68 Depth=2
	v_or_b32_sdwa v31, v19, s37 dst_sel:DWORD dst_unused:UNUSED_PAD src0_sel:BYTE_3 src1_sel:DWORD
; %bb.182:                              ;   in Loop: Header=BB4_68 Depth=2
	s_or_b64 exec, exec, s[18:19]
	v_lshrrev_b16_e32 v0, 8, v40
	v_cmp_ne_u16_e32 vcc, 0, v0
	v_mov_b32_e32 v19, 0
	s_and_saveexec_b64 s[18:19], vcc
	s_cbranch_execz .LBB4_188
; %bb.183:                              ;   in Loop: Header=BB4_68 Depth=2
	v_cmp_ne_u16_e32 vcc, s36, v0
	v_bfrev_b32_e32 v19, 1
	s_and_saveexec_b64 s[72:73], vcc
	s_cbranch_execz .LBB4_187
; %bb.184:                              ;   in Loop: Header=BB4_68 Depth=2
	v_and_b32_e32 v20, 0x7f, v0
	v_cmp_ne_u32_e32 vcc, s37, v20
	v_mov_b32_e32 v19, 0x7f800001
	s_and_saveexec_b64 s[74:75], vcc
	s_cbranch_execz .LBB4_186
; %bb.185:                              ;   in Loop: Header=BB4_68 Depth=2
	v_and_b32_e32 v23, 7, v0
	v_ffbh_u32_e32 v19, v23
	v_min_u32_e32 v27, 32, v19
	v_subrev_u32_e32 v19, 28, v27
	v_lshrrev_b32_e32 v24, 3, v20
	v_cmp_gt_u32_e32 vcc, 8, v20
	v_lshlrev_b64 v[19:20], v19, v[0:1]
	v_sub_u32_e32 v0, 29, v27
	v_and_b32_e32 v19, 7, v19
	v_cndmask_b32_e32 v0, v24, v0, vcc
	v_cndmask_b32_e32 v19, v23, v19, vcc
	v_lshlrev_b32_e32 v20, 16, v40
	v_lshlrev_b32_e32 v19, 20, v19
	v_and_b32_e32 v20, 0x80000000, v20
	v_lshl_add_u32 v0, v0, 23, v7
	v_or3_b32 v19, v20, v0, v19
.LBB4_186:                              ;   in Loop: Header=BB4_68 Depth=2
	s_or_b64 exec, exec, s[74:75]
.LBB4_187:                              ;   in Loop: Header=BB4_68 Depth=2
	s_or_b64 exec, exec, s[72:73]
.LBB4_188:                              ;   in Loop: Header=BB4_68 Depth=2
	s_or_b64 exec, exec, s[18:19]
	v_mul_f32_e32 v19, v62, v19
	v_and_b32_e32 v23, 0x7f800000, v19
	v_mov_b32_e32 v24, v41
	v_cmp_ne_u64_e32 vcc, s[46:47], v[23:24]
                                        ; implicit-def: $vgpr32
	s_and_saveexec_b64 s[18:19], vcc
	s_xor_b64 s[72:73], exec, s[18:19]
	s_cbranch_execz .LBB4_202
; %bb.189:                              ;   in Loop: Header=BB4_68 Depth=2
	v_and_b32_e32 v23, 0x7fffffff, v19
	v_mov_b32_e32 v24, v41
	v_cmp_gt_u64_e32 vcc, s[56:57], v[23:24]
	v_and_b32_sdwa v0, v19, s36 dst_sel:DWORD dst_unused:UNUSED_PAD src0_sel:BYTE_3 src1_sel:DWORD
                                        ; implicit-def: $vgpr32
	s_and_saveexec_b64 s[18:19], vcc
	s_xor_b64 s[74:75], exec, s[18:19]
	s_cbranch_execz .LBB4_199
; %bb.190:                              ;   in Loop: Header=BB4_68 Depth=2
	v_mov_b32_e32 v32, 0
	v_cmp_ne_u32_e32 vcc, 0, v19
	s_and_saveexec_b64 s[76:77], vcc
	s_cbranch_execz .LBB4_198
; %bb.191:                              ;   in Loop: Header=BB4_68 Depth=2
	v_bfe_u32 v32, v19, 23, 8
	v_and_b32_e32 v20, 0x7fffff, v19
	v_cmp_gt_u32_e64 s[18:19], s38, v32
	v_sub_u32_e32 v19, 0x79, v32
	v_cmp_eq_u32_e32 vcc, 0, v32
	v_cndmask_b32_e64 v19, 0, v19, s[18:19]
	v_or_b32_e32 v23, 0x800000, v20
	v_cndmask_b32_e32 v33, v19, v8, vcc
	v_cndmask_b32_e32 v19, v23, v20, vcc
	v_add_u32_e32 v23, 20, v33
	v_lshlrev_b64 v[23:24], v23, -1
	v_mov_b32_e32 v20, v41
	v_add_u32_e32 v27, 19, v33
	v_bfi_b32 v23, v23, 0, v19
	v_lshlrev_b64 v[27:28], v27, 1
	v_lshrrev_b64 v[19:20], v33, v[19:20]
	v_bfi_b32 v24, v24, 0, 0
	v_cmp_eq_u64_e64 s[18:19], v[23:24], v[27:28]
	v_mov_b32_e32 v28, v20
	v_mov_b32_e32 v27, v19
	s_and_saveexec_b64 s[78:79], s[18:19]
; %bb.192:                              ;   in Loop: Header=BB4_68 Depth=2
	v_bfe_u32 v20, v19, 20, 1
	v_add_co_u32_e64 v20, s[18:19], v19, v20
	v_add_co_u32_e64 v27, s[18:19], -1, v20
; %bb.193:                              ;   in Loop: Header=BB4_68 Depth=2
	s_or_b64 exec, exec, s[78:79]
	v_add_u32_e32 v20, 0xffffff81, v32
	v_cndmask_b32_e32 v20, v20, v54, vcc
	v_lshrrev_b32_e32 v23, 23, v19
	v_add3_u32 v24, v33, v20, v23
	v_add_u32_e32 v23, 6, v24
	v_and_b32_e32 v20, 0xfffff, v27
	v_add_u32_e32 v19, v20, v19
	v_mov_b32_e32 v20, v41
	v_cmp_ne_u32_e32 vcc, 0, v23
                                        ; implicit-def: $vgpr27
	s_and_saveexec_b64 s[18:19], vcc
	s_xor_b64 s[18:19], exec, s[18:19]
; %bb.194:                              ;   in Loop: Header=BB4_68 Depth=2
	v_cmp_lt_u64_e32 vcc, s[58:59], v[19:20]
	v_add_u32_e32 v24, 7, v24
	v_cndmask_b32_e32 v27, v23, v24, vcc
	v_cndmask_b32_e64 v23, 0, 1, vcc
	v_lshrrev_b64 v[19:20], v23, v[19:20]
; %bb.195:                              ;   in Loop: Header=BB4_68 Depth=2
	s_andn2_saveexec_b64 s[18:19], s[18:19]
; %bb.196:                              ;   in Loop: Header=BB4_68 Depth=2
	v_bfe_u32 v27, v19, 23, 1
; %bb.197:                              ;   in Loop: Header=BB4_68 Depth=2
	s_or_b64 exec, exec, s[18:19]
	v_lshrrev_b64 v[19:20], 20, v[19:20]
	v_cmp_gt_i32_e32 vcc, 16, v27
	v_cndmask_b32_e32 v20, 0, v20, vcc
	v_cndmask_b32_e32 v19, 7, v19, vcc
	v_cmp_eq_u64_e64 s[18:19], 0, v[19:20]
	v_min_i32_e32 v20, 15, v27
	v_lshlrev_b32_e32 v20, 3, v20
	v_cmp_eq_u32_e32 vcc, 0, v27
	v_and_b32_e32 v20, 0xf8, v20
	v_and_or_b32 v19, v19, 7, v20
	s_and_b64 s[18:19], vcc, s[18:19]
	v_cndmask_b32_e64 v19, v19, 0, s[18:19]
	v_or_b32_e32 v32, v19, v0
.LBB4_198:                              ;   in Loop: Header=BB4_68 Depth=2
	s_or_b64 exec, exec, s[76:77]
                                        ; implicit-def: $vgpr0
.LBB4_199:                              ;   in Loop: Header=BB4_68 Depth=2
	s_andn2_saveexec_b64 s[18:19], s[74:75]
; %bb.200:                              ;   in Loop: Header=BB4_68 Depth=2
	v_or_b32_e32 v32, 0x7e, v0
; %bb.201:                              ;   in Loop: Header=BB4_68 Depth=2
	s_or_b64 exec, exec, s[18:19]
                                        ; implicit-def: $vgpr19
.LBB4_202:                              ;   in Loop: Header=BB4_68 Depth=2
	s_andn2_saveexec_b64 s[18:19], s[72:73]
; %bb.203:                              ;   in Loop: Header=BB4_68 Depth=2
	v_or_b32_sdwa v32, v19, s37 dst_sel:DWORD dst_unused:UNUSED_PAD src0_sel:BYTE_3 src1_sel:DWORD
; %bb.204:                              ;   in Loop: Header=BB4_68 Depth=2
	s_or_b64 exec, exec, s[18:19]
	v_and_b32_sdwa v20, v40, s35 dst_sel:DWORD dst_unused:UNUSED_PAD src0_sel:WORD_1 src1_sel:DWORD
	v_lshrrev_b32_e32 v0, 16, v40
	v_cmp_ne_u16_e32 vcc, 0, v20
	v_mov_b32_e32 v19, 0
	s_and_saveexec_b64 s[18:19], vcc
	s_cbranch_execz .LBB4_210
; %bb.205:                              ;   in Loop: Header=BB4_68 Depth=2
	v_cmp_ne_u16_e32 vcc, s36, v20
	v_bfrev_b32_e32 v19, 1
	s_and_saveexec_b64 s[72:73], vcc
	s_cbranch_execz .LBB4_209
; %bb.206:                              ;   in Loop: Header=BB4_68 Depth=2
	v_bfe_u32 v20, v40, 16, 7
	v_cmp_ne_u32_e32 vcc, s37, v20
	v_mov_b32_e32 v19, 0x7f800001
	s_and_saveexec_b64 s[74:75], vcc
	s_cbranch_execz .LBB4_208
; %bb.207:                              ;   in Loop: Header=BB4_68 Depth=2
	v_and_b32_e32 v23, 7, v0
	v_ffbh_u32_e32 v19, v23
	v_min_u32_e32 v27, 32, v19
	v_subrev_u32_e32 v19, 28, v27
	v_lshrrev_b32_e32 v24, 3, v20
	v_cmp_gt_u32_e32 vcc, 8, v20
	v_lshlrev_b64 v[19:20], v19, v[0:1]
	v_sub_u32_e32 v0, 29, v27
	v_and_b32_e32 v19, 7, v19
	v_cndmask_b32_e32 v0, v24, v0, vcc
	v_cndmask_b32_e32 v19, v23, v19, vcc
	v_lshlrev_b32_sdwa v20, v55, v40 dst_sel:DWORD dst_unused:UNUSED_PAD src0_sel:DWORD src1_sel:WORD_1
	v_lshlrev_b32_e32 v19, 20, v19
	v_and_b32_e32 v20, 0x80000000, v20
	v_lshl_add_u32 v0, v0, 23, v7
	v_or3_b32 v19, v20, v0, v19
.LBB4_208:                              ;   in Loop: Header=BB4_68 Depth=2
	s_or_b64 exec, exec, s[74:75]
.LBB4_209:                              ;   in Loop: Header=BB4_68 Depth=2
	s_or_b64 exec, exec, s[72:73]
.LBB4_210:                              ;   in Loop: Header=BB4_68 Depth=2
	s_or_b64 exec, exec, s[18:19]
	v_mul_f32_e32 v19, v62, v19
	v_and_b32_e32 v23, 0x7f800000, v19
	v_mov_b32_e32 v24, v41
	v_cmp_ne_u64_e32 vcc, s[46:47], v[23:24]
                                        ; implicit-def: $vgpr33
	s_and_saveexec_b64 s[18:19], vcc
	s_xor_b64 s[72:73], exec, s[18:19]
	s_cbranch_execz .LBB4_224
; %bb.211:                              ;   in Loop: Header=BB4_68 Depth=2
	v_and_b32_e32 v23, 0x7fffffff, v19
	v_mov_b32_e32 v24, v41
	v_cmp_gt_u64_e32 vcc, s[56:57], v[23:24]
	v_and_b32_sdwa v0, v19, s36 dst_sel:DWORD dst_unused:UNUSED_PAD src0_sel:BYTE_3 src1_sel:DWORD
                                        ; implicit-def: $vgpr33
	s_and_saveexec_b64 s[18:19], vcc
	s_xor_b64 s[74:75], exec, s[18:19]
	s_cbranch_execz .LBB4_221
; %bb.212:                              ;   in Loop: Header=BB4_68 Depth=2
	v_mov_b32_e32 v33, 0
	v_cmp_ne_u32_e32 vcc, 0, v19
	s_and_saveexec_b64 s[76:77], vcc
	s_cbranch_execz .LBB4_220
; %bb.213:                              ;   in Loop: Header=BB4_68 Depth=2
	v_bfe_u32 v33, v19, 23, 8
	v_and_b32_e32 v20, 0x7fffff, v19
	v_cmp_gt_u32_e64 s[18:19], s38, v33
	v_sub_u32_e32 v19, 0x79, v33
	v_cmp_eq_u32_e32 vcc, 0, v33
	v_cndmask_b32_e64 v19, 0, v19, s[18:19]
	v_or_b32_e32 v23, 0x800000, v20
	v_cndmask_b32_e32 v49, v19, v8, vcc
	v_cndmask_b32_e32 v19, v23, v20, vcc
	v_add_u32_e32 v23, 20, v49
	v_lshlrev_b64 v[23:24], v23, -1
	v_mov_b32_e32 v20, v41
	v_add_u32_e32 v27, 19, v49
	v_bfi_b32 v23, v23, 0, v19
	v_lshlrev_b64 v[27:28], v27, 1
	v_lshrrev_b64 v[19:20], v49, v[19:20]
	v_bfi_b32 v24, v24, 0, 0
	v_cmp_eq_u64_e64 s[18:19], v[23:24], v[27:28]
	v_mov_b32_e32 v28, v20
	v_mov_b32_e32 v27, v19
	s_and_saveexec_b64 s[78:79], s[18:19]
; %bb.214:                              ;   in Loop: Header=BB4_68 Depth=2
	v_bfe_u32 v20, v19, 20, 1
	v_add_co_u32_e64 v20, s[18:19], v19, v20
	v_add_co_u32_e64 v27, s[18:19], -1, v20
; %bb.215:                              ;   in Loop: Header=BB4_68 Depth=2
	s_or_b64 exec, exec, s[78:79]
	v_add_u32_e32 v20, 0xffffff81, v33
	v_cndmask_b32_e32 v20, v20, v54, vcc
	v_lshrrev_b32_e32 v23, 23, v19
	v_add3_u32 v24, v49, v20, v23
	v_add_u32_e32 v23, 6, v24
	v_and_b32_e32 v20, 0xfffff, v27
	v_add_u32_e32 v19, v20, v19
	v_mov_b32_e32 v20, v41
	v_cmp_ne_u32_e32 vcc, 0, v23
                                        ; implicit-def: $vgpr27
	s_and_saveexec_b64 s[18:19], vcc
	s_xor_b64 s[18:19], exec, s[18:19]
; %bb.216:                              ;   in Loop: Header=BB4_68 Depth=2
	v_cmp_lt_u64_e32 vcc, s[58:59], v[19:20]
	v_add_u32_e32 v24, 7, v24
	v_cndmask_b32_e32 v27, v23, v24, vcc
	v_cndmask_b32_e64 v23, 0, 1, vcc
	v_lshrrev_b64 v[19:20], v23, v[19:20]
; %bb.217:                              ;   in Loop: Header=BB4_68 Depth=2
	s_andn2_saveexec_b64 s[18:19], s[18:19]
; %bb.218:                              ;   in Loop: Header=BB4_68 Depth=2
	v_bfe_u32 v27, v19, 23, 1
; %bb.219:                              ;   in Loop: Header=BB4_68 Depth=2
	s_or_b64 exec, exec, s[18:19]
	v_lshrrev_b64 v[19:20], 20, v[19:20]
	v_cmp_gt_i32_e32 vcc, 16, v27
	v_cndmask_b32_e32 v20, 0, v20, vcc
	v_cndmask_b32_e32 v19, 7, v19, vcc
	v_cmp_eq_u64_e64 s[18:19], 0, v[19:20]
	v_min_i32_e32 v20, 15, v27
	v_lshlrev_b32_e32 v20, 3, v20
	v_cmp_eq_u32_e32 vcc, 0, v27
	v_and_b32_e32 v20, 0xf8, v20
	v_and_or_b32 v19, v19, 7, v20
	s_and_b64 s[18:19], vcc, s[18:19]
	v_cndmask_b32_e64 v19, v19, 0, s[18:19]
	v_or_b32_e32 v33, v19, v0
.LBB4_220:                              ;   in Loop: Header=BB4_68 Depth=2
	s_or_b64 exec, exec, s[76:77]
                                        ; implicit-def: $vgpr0
.LBB4_221:                              ;   in Loop: Header=BB4_68 Depth=2
	s_andn2_saveexec_b64 s[18:19], s[74:75]
; %bb.222:                              ;   in Loop: Header=BB4_68 Depth=2
	v_or_b32_e32 v33, 0x7e, v0
; %bb.223:                              ;   in Loop: Header=BB4_68 Depth=2
	s_or_b64 exec, exec, s[18:19]
                                        ; implicit-def: $vgpr19
.LBB4_224:                              ;   in Loop: Header=BB4_68 Depth=2
	s_andn2_saveexec_b64 s[18:19], s[72:73]
; %bb.225:                              ;   in Loop: Header=BB4_68 Depth=2
	v_or_b32_sdwa v33, v19, s37 dst_sel:DWORD dst_unused:UNUSED_PAD src0_sel:BYTE_3 src1_sel:DWORD
; %bb.226:                              ;   in Loop: Header=BB4_68 Depth=2
	s_or_b64 exec, exec, s[18:19]
	v_cmp_lt_u32_e32 vcc, s39, v40
	v_mov_b32_e32 v19, 0
	s_and_saveexec_b64 s[18:19], vcc
	s_cbranch_execz .LBB4_232
; %bb.227:                              ;   in Loop: Header=BB4_68 Depth=2
	v_lshrrev_b32_e32 v0, 24, v40
	v_cmp_ne_u32_sdwa s[74:75], v40, s36 src0_sel:BYTE_3 src1_sel:DWORD
	v_bfrev_b32_e32 v19, 1
	s_and_saveexec_b64 s[72:73], s[74:75]
	s_cbranch_execz .LBB4_231
; %bb.228:                              ;   in Loop: Header=BB4_68 Depth=2
	v_bfe_u32 v20, v40, 24, 7
	v_cmp_ne_u32_e32 vcc, s37, v20
	v_mov_b32_e32 v19, 0x7f800001
	s_and_saveexec_b64 s[74:75], vcc
	s_cbranch_execz .LBB4_230
; %bb.229:                              ;   in Loop: Header=BB4_68 Depth=2
	v_and_b32_e32 v23, 7, v0
	v_ffbh_u32_e32 v19, v23
	v_min_u32_e32 v27, 32, v19
	v_subrev_u32_e32 v19, 28, v27
	v_lshrrev_b32_e32 v24, 3, v20
	v_cmp_gt_u32_e32 vcc, 8, v20
	v_lshlrev_b64 v[19:20], v19, v[0:1]
	v_sub_u32_e32 v0, 29, v27
	v_and_b32_e32 v19, 7, v19
	v_cndmask_b32_e32 v0, v24, v0, vcc
	v_cndmask_b32_e32 v19, v23, v19, vcc
	v_lshlrev_b32_sdwa v20, v55, v40 dst_sel:DWORD dst_unused:UNUSED_PAD src0_sel:DWORD src1_sel:BYTE_3
	v_lshlrev_b32_e32 v19, 20, v19
	v_and_b32_e32 v20, 0x80000000, v20
	v_lshl_add_u32 v0, v0, 23, v7
	v_or3_b32 v19, v20, v0, v19
.LBB4_230:                              ;   in Loop: Header=BB4_68 Depth=2
	s_or_b64 exec, exec, s[74:75]
.LBB4_231:                              ;   in Loop: Header=BB4_68 Depth=2
	s_or_b64 exec, exec, s[72:73]
.LBB4_232:                              ;   in Loop: Header=BB4_68 Depth=2
	s_or_b64 exec, exec, s[18:19]
	v_mul_f32_e32 v20, v62, v19
	v_and_b32_e32 v40, 0x7f800000, v20
	v_cmp_ne_u64_e32 vcc, s[46:47], v[40:41]
                                        ; implicit-def: $vgpr19
	s_and_saveexec_b64 s[18:19], vcc
	s_xor_b64 s[72:73], exec, s[18:19]
	s_cbranch_execz .LBB4_246
; %bb.233:                              ;   in Loop: Header=BB4_68 Depth=2
	v_and_b32_e32 v40, 0x7fffffff, v20
	v_cmp_gt_u64_e32 vcc, s[56:57], v[40:41]
	v_and_b32_sdwa v0, v20, s36 dst_sel:DWORD dst_unused:UNUSED_PAD src0_sel:BYTE_3 src1_sel:DWORD
                                        ; implicit-def: $vgpr19
	s_and_saveexec_b64 s[18:19], vcc
	s_xor_b64 s[74:75], exec, s[18:19]
	s_cbranch_execz .LBB4_243
; %bb.234:                              ;   in Loop: Header=BB4_68 Depth=2
	v_mov_b32_e32 v19, 0
	v_cmp_ne_u32_e32 vcc, 0, v20
	s_and_saveexec_b64 s[76:77], vcc
	s_cbranch_execz .LBB4_242
; %bb.235:                              ;   in Loop: Header=BB4_68 Depth=2
	v_bfe_u32 v49, v20, 23, 8
	v_and_b32_e32 v19, 0x7fffff, v20
	v_cmp_gt_u32_e64 s[18:19], s38, v49
	v_sub_u32_e32 v20, 0x79, v49
	v_cmp_eq_u32_e32 vcc, 0, v49
	v_cndmask_b32_e64 v20, 0, v20, s[18:19]
	v_or_b32_e32 v23, 0x800000, v19
	v_cndmask_b32_e32 v42, v20, v8, vcc
	v_cndmask_b32_e32 v40, v23, v19, vcc
	v_add_u32_e32 v19, 20, v42
	v_lshlrev_b64 v[19:20], v19, -1
	v_add_u32_e32 v23, 19, v42
	v_lshlrev_b64 v[23:24], v23, 1
	v_bfi_b32 v20, v20, 0, 0
	v_bfi_b32 v19, v19, 0, v40
	v_cmp_eq_u64_e64 s[18:19], v[19:20], v[23:24]
	v_lshrrev_b64 v[19:20], v42, v[40:41]
	v_mov_b32_e32 v28, v20
	v_mov_b32_e32 v27, v19
	s_and_saveexec_b64 s[78:79], s[18:19]
; %bb.236:                              ;   in Loop: Header=BB4_68 Depth=2
	v_bfe_u32 v20, v19, 20, 1
	v_add_co_u32_e64 v20, s[18:19], v19, v20
	v_add_co_u32_e64 v27, s[18:19], -1, v20
; %bb.237:                              ;   in Loop: Header=BB4_68 Depth=2
	s_or_b64 exec, exec, s[78:79]
	v_add_u32_e32 v20, 0xffffff81, v49
	v_cndmask_b32_e32 v20, v20, v54, vcc
	v_lshrrev_b32_e32 v23, 23, v19
	v_add3_u32 v24, v42, v20, v23
	v_add_u32_e32 v23, 6, v24
	v_and_b32_e32 v20, 0xfffff, v27
	v_add_u32_e32 v40, v20, v19
	v_cmp_ne_u32_e32 vcc, 0, v23
                                        ; implicit-def: $vgpr19_vgpr20
                                        ; implicit-def: $vgpr27
	s_and_saveexec_b64 s[18:19], vcc
	s_xor_b64 s[18:19], exec, s[18:19]
; %bb.238:                              ;   in Loop: Header=BB4_68 Depth=2
	v_cmp_lt_u64_e32 vcc, s[58:59], v[40:41]
	v_add_u32_e32 v19, 7, v24
	v_cndmask_b32_e32 v27, v23, v19, vcc
	v_cndmask_b32_e64 v19, 0, 1, vcc
	v_lshrrev_b64 v[19:20], v19, v[40:41]
; %bb.239:                              ;   in Loop: Header=BB4_68 Depth=2
	s_andn2_saveexec_b64 s[18:19], s[18:19]
; %bb.240:                              ;   in Loop: Header=BB4_68 Depth=2
	v_mov_b32_e32 v19, v40
	v_bfe_u32 v27, v40, 23, 1
	v_mov_b32_e32 v20, v41
; %bb.241:                              ;   in Loop: Header=BB4_68 Depth=2
	s_or_b64 exec, exec, s[18:19]
	v_lshrrev_b64 v[19:20], 20, v[19:20]
	v_cmp_gt_i32_e32 vcc, 16, v27
	v_cndmask_b32_e32 v20, 0, v20, vcc
	v_cndmask_b32_e32 v19, 7, v19, vcc
	v_cmp_eq_u64_e64 s[18:19], 0, v[19:20]
	v_min_i32_e32 v20, 15, v27
	v_lshlrev_b32_e32 v20, 3, v20
	v_cmp_eq_u32_e32 vcc, 0, v27
	v_and_b32_e32 v20, 0xf8, v20
	v_and_or_b32 v19, v19, 7, v20
	s_and_b64 s[18:19], vcc, s[18:19]
	v_cndmask_b32_e64 v19, v19, 0, s[18:19]
	v_or_b32_e32 v19, v19, v0
.LBB4_242:                              ;   in Loop: Header=BB4_68 Depth=2
	s_or_b64 exec, exec, s[76:77]
                                        ; implicit-def: $vgpr0
.LBB4_243:                              ;   in Loop: Header=BB4_68 Depth=2
	s_andn2_saveexec_b64 s[18:19], s[74:75]
; %bb.244:                              ;   in Loop: Header=BB4_68 Depth=2
	v_or_b32_e32 v19, 0x7e, v0
; %bb.245:                              ;   in Loop: Header=BB4_68 Depth=2
	s_or_b64 exec, exec, s[18:19]
                                        ; implicit-def: $vgpr20
.LBB4_246:                              ;   in Loop: Header=BB4_68 Depth=2
	s_andn2_saveexec_b64 s[18:19], s[72:73]
	s_cbranch_execz .LBB4_67
; %bb.247:                              ;   in Loop: Header=BB4_68 Depth=2
	v_or_b32_sdwa v19, v20, s37 dst_sel:DWORD dst_unused:UNUSED_PAD src0_sel:BYTE_3 src1_sel:DWORD
	s_branch .LBB4_67
.LBB4_248:                              ;   in Loop: Header=BB4_30 Depth=1
	s_or_b64 exec, exec, s[62:63]
.LBB4_249:                              ;   in Loop: Header=BB4_30 Depth=1
	s_or_b64 exec, exec, s[60:61]
	v_and_b32_e32 v40, 0x7ffffff8, v21
	v_cmp_eq_u64_e32 vcc, s[44:45], v[40:41]
	v_cmp_gt_i32_e64 s[18:19], s34, v29
	s_and_b64 s[18:19], vcc, s[18:19]
	s_and_saveexec_b64 s[60:61], s[18:19]
	s_cbranch_execz .LBB4_252
; %bb.250:                              ;   in Loop: Header=BB4_30 Depth=1
	v_mul_lo_u32 v9, v9, s34
	v_ashrrev_i32_e32 v30, 31, v29
	v_lshlrev_b64 v[19:20], 4, v[29:30]
	v_mov_b32_e32 v17, v41
	v_ashrrev_i32_e32 v10, 31, v9
	v_lshlrev_b64 v[9:10], 4, v[9:10]
	s_mov_b64 s[62:63], 0
	s_waitcnt lgkmcnt(0)
	v_add_co_u32_e32 v0, vcc, v19, v9
	v_addc_co_u32_e32 v4, vcc, v20, v10, vcc
	buffer_load_dword v9, off, s[0:3], s32 offset:68 ; 4-byte Folded Reload
	buffer_load_dword v10, off, s[0:3], s32 offset:72 ; 4-byte Folded Reload
	s_waitcnt vmcnt(1)
	v_add_co_u32_e32 v27, vcc, v9, v0
	s_waitcnt vmcnt(0)
	v_addc_co_u32_e32 v28, vcc, v10, v4, vcc
.LBB4_251:                              ;   Parent Loop BB4_30 Depth=1
                                        ; =>  This Inner Loop Header: Depth=2
	v_mov_b32_e32 v19, v17
	v_mov_b32_e32 v20, v18
	v_add_u32_e32 v29, v29, v1
	global_store_dwordx4 v[27:28], v[17:20], off
	v_add_co_u32_e32 v27, vcc, v27, v5
	v_cmp_le_i32_e64 s[18:19], s34, v29
	s_or_b64 s[62:63], s[18:19], s[62:63]
	v_addc_co_u32_e32 v28, vcc, v28, v6, vcc
	s_andn2_b64 exec, exec, s[62:63]
	s_cbranch_execnz .LBB4_251
.LBB4_252:                              ;   in Loop: Header=BB4_30 Depth=1
	s_or_b64 exec, exec, s[60:61]
	buffer_load_dword v9, off, s[0:3], s32 offset:140 ; 4-byte Folded Reload
	buffer_load_dword v10, off, s[0:3], s32 offset:144 ; 4-byte Folded Reload
	v_add_co_u32_e64 v46, s[18:19], 1, v21
	v_addc_co_u32_e64 v47, s[18:19], 0, v22, s[18:19]
	s_waitcnt vmcnt(0)
	v_add_co_u32_e32 v23, vcc, v36, v9
	buffer_store_dword v36, off, s[0:3], s32 offset:128 ; 4-byte Folded Spill
	s_nop 0
	buffer_store_dword v37, off, s[0:3], s32 offset:132 ; 4-byte Folded Spill
	v_addc_co_u32_e32 v24, vcc, v37, v10, vcc
	s_andn2_b64 vcc, exec, s[42:43]
	s_cbranch_vccnz .LBB4_734
; %bb.253:                              ;   in Loop: Header=BB4_30 Depth=1
	s_waitcnt lgkmcnt(0)
	buffer_load_dword v0, off, s[0:3], s32 offset:204 ; 4-byte Folded Reload
	v_add_u16_e32 v49, 1, v21
	s_mov_b32 s48, 2
	buffer_store_dword v23, off, s[0:3], s32 offset:180 ; 4-byte Folded Spill
	buffer_store_dword v24, off, s[0:3], s32 offset:184 ; 4-byte Folded Spill
	s_waitcnt vmcnt(2)
	v_add_co_u32_e32 v9, vcc, v0, v23
	buffer_load_dword v0, off, s[0:3], s32 offset:208 ; 4-byte Folded Reload
	s_waitcnt vmcnt(0)
	v_addc_co_u32_e32 v10, vcc, v0, v24, vcc
	buffer_store_dword v9, off, s[0:3], s32 offset:104 ; 4-byte Folded Spill
	s_nop 0
	buffer_store_dword v10, off, s[0:3], s32 offset:108 ; 4-byte Folded Spill
	s_branch .LBB4_255
.LBB4_254:                              ;   in Loop: Header=BB4_255 Depth=2
	s_or_b64 exec, exec, s[60:61]
	v_add_co_u32_e32 v34, vcc, 1, v34
	v_addc_co_u32_e32 v35, vcc, 0, v35, vcc
	s_add_i32 s48, s48, 1
	v_add_co_u32_e32 v46, vcc, 1, v46
	v_addc_co_u32_e32 v47, vcc, 0, v47, vcc
	s_cmp_eq_u32 s48, s20
	v_add_u16_e32 v49, 1, v49
	s_cbranch_scc1 .LBB4_735
.LBB4_255:                              ;   Parent Loop BB4_30 Depth=1
                                        ; =>  This Loop Header: Depth=2
                                        ;       Child Loop BB4_260 Depth 3
                                        ;       Child Loop BB4_279 Depth 3
	;; [unrolled: 1-line block ×3, first 2 shown]
                                        ;         Child Loop BB4_307 Depth 4
                                        ;       Child Loop BB4_723 Depth 3
                                        ;       Child Loop BB4_296 Depth 3
	s_sub_i32 s26, s20, s48
	s_lshl_b64 s[18:19], s[26:27], 2
	s_waitcnt lgkmcnt(0)
	v_mov_b32_e32 v0, s19
	v_add_co_u32_e32 v9, vcc, s18, v60
	v_addc_co_u32_e32 v10, vcc, v61, v0, vcc
	flat_load_dword v0, v[9:10]
	s_and_saveexec_b64 s[60:61], s[6:7]
	s_cbranch_execz .LBB4_271
; %bb.256:                              ;   in Loop: Header=BB4_255 Depth=2
	v_add_co_u32_e32 v17, vcc, 1, v15
	v_addc_co_u32_e32 v18, vcc, 0, v16, vcc
	v_add_co_u32_e32 v9, vcc, 8, v52
	v_addc_co_u32_e32 v10, vcc, 0, v53, vcc
	v_cmp_lt_u64_e32 vcc, v[9:10], v[17:18]
	s_and_saveexec_b64 s[62:63], vcc
	s_cbranch_execz .LBB4_268
; %bb.257:                              ;   in Loop: Header=BB4_255 Depth=2
	s_mov_b32 s26, 0
	v_cmp_eq_u32_e32 vcc, 0, v12
	s_mov_b64 s[72:73], 0
                                        ; implicit-def: $sgpr74_sgpr75
                                        ; implicit-def: $sgpr76_sgpr77
                                        ; implicit-def: $sgpr78_sgpr79
	s_branch .LBB4_260
.LBB4_258:                              ;   in Loop: Header=BB4_260 Depth=3
	s_or_b64 exec, exec, s[30:31]
	s_andn2_b64 s[18:19], s[78:79], exec
	s_and_b64 s[78:79], s[92:93], exec
	s_or_b64 s[78:79], s[18:19], s[78:79]
	s_andn2_b64 s[18:19], s[76:77], exec
	s_and_b64 s[76:77], s[90:91], exec
	s_or_b64 s[76:77], s[18:19], s[76:77]
.LBB4_259:                              ;   in Loop: Header=BB4_260 Depth=3
	s_or_b64 exec, exec, s[88:89]
	s_and_b64 s[18:19], exec, s[76:77]
	s_or_b64 s[72:73], s[18:19], s[72:73]
	s_andn2_b64 s[18:19], s[74:75], exec
	s_and_b64 s[74:75], s[78:79], exec
	s_or_b64 s[74:75], s[18:19], s[74:75]
	s_andn2_b64 exec, exec, s[72:73]
	s_cbranch_execz .LBB4_265
.LBB4_260:                              ;   Parent Loop BB4_30 Depth=1
                                        ;     Parent Loop BB4_255 Depth=2
                                        ; =>    This Inner Loop Header: Depth=3
	s_sleep 1
	s_waitcnt vmcnt(0) lgkmcnt(0)
	flat_load_dwordx2 v[52:53], v[50:51] glc
	v_mov_b32_e32 v12, 1
	s_or_b64 s[78:79], s[78:79], exec
	s_or_b64 s[76:77], s[76:77], exec
                                        ; implicit-def: $vgpr4
	s_and_saveexec_b64 s[88:89], vcc
	s_cbranch_execz .LBB4_259
; %bb.261:                              ;   in Loop: Header=BB4_260 Depth=3
	s_add_i32 s26, s26, 1
	s_cmpk_lg_i32 s26, 0x2710
	s_cselect_b64 s[94:95], -1, 0
	s_cmpk_eq_i32 s26, 0x2710
	s_mov_b64 s[90:91], -1
	s_mov_b64 s[92:93], -1
                                        ; implicit-def: $vgpr4
	s_cbranch_scc1 .LBB4_263
; %bb.262:                              ;   in Loop: Header=BB4_260 Depth=3
	v_mov_b32_e32 v12, 1
	s_and_saveexec_b64 s[30:31], s[94:95]
	s_cbranch_execz .LBB4_258
	s_branch .LBB4_264
.LBB4_263:                              ;   in Loop: Header=BB4_260 Depth=3
	s_trap 2
	s_waitcnt vmcnt(0) lgkmcnt(0)
	ds_read_b64 v[9:10], v0
	s_andn2_b64 s[94:95], s[94:95], exec
	s_mov_b32 s26, 0
	s_mov_b64 s[92:93], 0
	s_waitcnt lgkmcnt(0)
	flat_load_dword v4, v[9:10] glc
	s_waitcnt vmcnt(0) lgkmcnt(0)
	buffer_wbinvl1_vol
	v_cmp_eq_u32_e64 s[18:19], 0, v4
	s_and_b64 s[18:19], s[18:19], exec
	s_or_b64 s[94:95], s[94:95], s[18:19]
	v_mov_b32_e32 v12, 1
	s_and_saveexec_b64 s[30:31], s[94:95]
	s_cbranch_execz .LBB4_258
.LBB4_264:                              ;   in Loop: Header=BB4_260 Depth=3
	s_waitcnt vmcnt(0) lgkmcnt(0)
	v_add_co_u32_e64 v9, s[18:19], 8, v52
	v_addc_co_u32_e64 v10, s[18:19], 0, v53, s[18:19]
	v_cmp_ge_u64_e64 s[18:19], v[9:10], v[17:18]
	v_mov_b32_e32 v12, 0
	s_or_b64 s[92:93], s[92:93], exec
	s_orn2_b64 s[90:91], s[18:19], exec
	s_branch .LBB4_258
.LBB4_265:                              ;   in Loop: Header=BB4_255 Depth=2
	s_or_b64 exec, exec, s[72:73]
	s_xor_b64 s[18:19], s[74:75], -1
	s_and_saveexec_b64 s[72:73], s[18:19]
	s_xor_b64 s[18:19], exec, s[72:73]
	s_cbranch_execz .LBB4_267
; %bb.266:                              ;   in Loop: Header=BB4_255 Depth=2
	v_mov_b32_e32 v12, 1
	s_waitcnt vmcnt(0) lgkmcnt(0)
	ds_write_b32 v0, v4
	s_trap 2
.LBB4_267:                              ;   in Loop: Header=BB4_255 Depth=2
	s_or_b64 exec, exec, s[18:19]
.LBB4_268:                              ;   in Loop: Header=BB4_255 Depth=2
	s_or_b64 exec, exec, s[62:63]
	s_and_saveexec_b64 s[18:19], s[8:9]
	s_cbranch_execz .LBB4_270
; %bb.269:                              ;   in Loop: Header=BB4_255 Depth=2
	buffer_load_dword v11, off, s[0:3], s32 offset:112 ; 4-byte Folded Reload
	v_and_b32_e32 v40, 0x7ffffff8, v15
	v_and_b32_e32 v4, 7, v15
	v_mad_u64_u32 v[9:10], s[62:63], v4, 24, v[13:14]
	v_cmp_eq_u64_e32 vcc, s[44:45], v[40:41]
	v_mov_b32_e32 v4, s21
	s_waitcnt vmcnt(0)
	v_cndmask_b32_e32 v15, v11, v4, vcc
	v_ashrrev_i32_e32 v16, 31, v15
	flat_store_dwordx2 v[9:10], v[15:16] offset:8
	s_waitcnt vmcnt(0)
.LBB4_270:                              ;   in Loop: Header=BB4_255 Depth=2
	s_or_b64 exec, exec, s[18:19]
	v_mov_b32_e32 v15, v17
	v_mov_b32_e32 v16, v18
.LBB4_271:                              ;   in Loop: Header=BB4_255 Depth=2
	s_or_b64 exec, exec, s[60:61]
	s_and_saveexec_b64 s[18:19], s[10:11]
	s_cbranch_execz .LBB4_290
; %bb.272:                              ;   in Loop: Header=BB4_255 Depth=2
	s_and_saveexec_b64 s[60:61], s[40:41]
	s_xor_b64 s[60:61], exec, s[60:61]
	s_cbranch_execz .LBB4_287
; %bb.273:                              ;   in Loop: Header=BB4_255 Depth=2
	s_and_saveexec_b64 s[62:63], s[12:13]
	s_cbranch_execz .LBB4_286
; %bb.274:                              ;   in Loop: Header=BB4_255 Depth=2
	s_mov_b64 s[74:75], exec
	v_mbcnt_lo_u32_b32 v4, s74, 0
	v_mbcnt_hi_u32_b32 v4, s75, v4
	v_cmp_eq_u32_e32 vcc, 0, v4
	s_waitcnt vmcnt(0) lgkmcnt(0)
	buffer_wbinvl1_vol
	s_and_saveexec_b64 s[72:73], vcc
	s_cbranch_execz .LBB4_276
; %bb.275:                              ;   in Loop: Header=BB4_255 Depth=2
	s_bcnt1_i32_b64 s26, s[74:75]
	v_mov_b32_e32 v40, s26
	ds_add_u64 v0, v[40:41]
	s_trap 2
.LBB4_276:                              ;   in Loop: Header=BB4_255 Depth=2
	s_or_b64 exec, exec, s[72:73]
	s_trap 2
	ds_read_b64 v[9:10], v0
	s_waitcnt lgkmcnt(0)
	buffer_load_dword v4, off, s[0:3], s32 offset:116 ; 4-byte Folded Reload
	s_waitcnt vmcnt(0)
	v_add_co_u32_e32 v2, vcc, v2, v4
	v_addc_co_u32_e32 v3, vcc, 0, v3, vcc
	v_cmp_lt_u64_e32 vcc, v[9:10], v[2:3]
	s_and_saveexec_b64 s[72:73], vcc
	s_cbranch_execz .LBB4_285
; %bb.277:                              ;   in Loop: Header=BB4_255 Depth=2
	s_mov_b32 s26, 0
	s_mov_b64 s[74:75], 0
                                        ; implicit-def: $sgpr76_sgpr77
                                        ; implicit-def: $sgpr78_sgpr79
	s_branch .LBB4_279
.LBB4_278:                              ;   in Loop: Header=BB4_279 Depth=3
	s_or_b64 exec, exec, s[90:91]
	s_and_b64 s[88:89], exec, s[92:93]
	s_or_b64 s[74:75], s[88:89], s[74:75]
	s_andn2_b64 s[76:77], s[76:77], exec
	s_and_b64 s[88:89], s[78:79], exec
	s_or_b64 s[76:77], s[76:77], s[88:89]
	s_andn2_b64 exec, exec, s[74:75]
	s_cbranch_execz .LBB4_283
.LBB4_279:                              ;   Parent Loop BB4_30 Depth=1
                                        ;     Parent Loop BB4_255 Depth=2
                                        ; =>    This Inner Loop Header: Depth=3
	s_add_i32 s26, s26, 1
	s_cmpk_lg_i32 s26, 0x2710
	s_cselect_b64 s[88:89], -1, 0
	s_and_b64 vcc, exec, s[88:89]
	s_cbranch_vccz .LBB4_281
; %bb.280:                              ;   in Loop: Header=BB4_279 Depth=3
	s_mov_b64 s[92:93], -1
	s_or_b64 s[78:79], s[78:79], exec
	s_and_saveexec_b64 s[90:91], s[88:89]
	s_cbranch_execz .LBB4_278
	s_branch .LBB4_282
.LBB4_281:                              ;   in Loop: Header=BB4_279 Depth=3
	s_trap 2
	ds_read_b64 v[9:10], v0
	s_andn2_b64 s[88:89], s[88:89], exec
	s_mov_b32 s26, 0
	s_waitcnt lgkmcnt(0)
	flat_load_dword v4, v[9:10] glc
	s_waitcnt vmcnt(0) lgkmcnt(0)
	buffer_wbinvl1_vol
	v_cmp_eq_u32_e32 vcc, 0, v4
	s_and_b64 s[90:91], vcc, exec
	s_or_b64 s[88:89], s[88:89], s[90:91]
	s_mov_b64 s[92:93], -1
	s_or_b64 s[78:79], s[78:79], exec
	s_and_saveexec_b64 s[90:91], s[88:89]
	s_cbranch_execz .LBB4_278
.LBB4_282:                              ;   in Loop: Header=BB4_279 Depth=3
	s_sleep 1
	s_trap 2
	ds_read_b64 v[9:10], v0
	s_waitcnt lgkmcnt(0)
	s_andn2_b64 s[78:79], s[78:79], exec
	v_cmp_ge_u64_e32 vcc, v[9:10], v[2:3]
	s_orn2_b64 s[92:93], vcc, exec
	s_branch .LBB4_278
.LBB4_283:                              ;   in Loop: Header=BB4_255 Depth=2
	s_or_b64 exec, exec, s[74:75]
	s_and_saveexec_b64 s[74:75], s[76:77]
	s_xor_b64 s[74:75], exec, s[74:75]
	s_cbranch_execz .LBB4_285
; %bb.284:                              ;   in Loop: Header=BB4_255 Depth=2
	v_mov_b32_e32 v4, 1
	ds_write_b32 v0, v4
	s_trap 2
.LBB4_285:                              ;   in Loop: Header=BB4_255 Depth=2
	s_or_b64 exec, exec, s[72:73]
	;;#ASMSTART
	s_wakeup
	;;#ASMEND
.LBB4_286:                              ;   in Loop: Header=BB4_255 Depth=2
	s_or_b64 exec, exec, s[62:63]
.LBB4_287:                              ;   in Loop: Header=BB4_255 Depth=2
	s_andn2_saveexec_b64 s[60:61], s[60:61]
	s_cbranch_execz .LBB4_289
; %bb.288:                              ;   in Loop: Header=BB4_255 Depth=2
	s_waitcnt vmcnt(0) lgkmcnt(0)
	buffer_wbinvl1_vol
	s_barrier
.LBB4_289:                              ;   in Loop: Header=BB4_255 Depth=2
	s_or_b64 exec, exec, s[60:61]
.LBB4_290:                              ;   in Loop: Header=BB4_255 Depth=2
	s_or_b64 exec, exec, s[18:19]
	buffer_load_dword v58, off, s[0:3], s32 offset:60 ; 4-byte Folded Reload
	buffer_load_dword v59, off, s[0:3], s32 offset:64 ; 4-byte Folded Reload
	v_add_u32_e32 v18, 1, v46
	s_and_saveexec_b64 s[60:61], s[16:17]
	s_cbranch_execnz .LBB4_297
; %bb.291:                              ;   in Loop: Header=BB4_255 Depth=2
	s_or_b64 exec, exec, s[60:61]
	s_and_saveexec_b64 s[18:19], s[10:11]
	s_cbranch_execnz .LBB4_716
.LBB4_292:                              ;   in Loop: Header=BB4_255 Depth=2
	s_or_b64 exec, exec, s[18:19]
	s_and_saveexec_b64 s[18:19], s[14:15]
	s_cbranch_execz .LBB4_294
.LBB4_293:                              ;   in Loop: Header=BB4_255 Depth=2
	buffer_load_dword v9, off, s[0:3], s32 offset:88 ; 4-byte Folded Reload
	buffer_load_dword v10, off, s[0:3], s32 offset:92 ; 4-byte Folded Reload
	v_add_co_u32_e32 v38, vcc, 1, v38
	v_addc_co_u32_e32 v39, vcc, 0, v39, vcc
	s_waitcnt vmcnt(0)
	flat_store_dwordx2 v[9:10], v[38:39]
.LBB4_294:                              ;   in Loop: Header=BB4_255 Depth=2
	s_or_b64 exec, exec, s[18:19]
	v_and_b32_e32 v40, 0x7ffffff8, v46
	v_cmp_eq_u64_e32 vcc, s[44:45], v[40:41]
	s_waitcnt vmcnt(0)
	v_cmp_gt_i32_e64 s[18:19], s34, v58
	s_and_b64 s[18:19], vcc, s[18:19]
	s_and_saveexec_b64 s[60:61], s[18:19]
	s_cbranch_execz .LBB4_254
; %bb.295:                              ;   in Loop: Header=BB4_255 Depth=2
	s_waitcnt lgkmcnt(0)
	v_and_b32_e32 v0, 7, v49
	v_mul_lo_u32 v9, s34, v0
	v_ashrrev_i32_e32 v59, 31, v58
	v_lshlrev_b64 v[19:20], 4, v[58:59]
	v_mov_b32_e32 v17, v41
	v_ashrrev_i32_e32 v10, 31, v9
	v_lshlrev_b64 v[9:10], 4, v[9:10]
	s_mov_b64 s[62:63], 0
	v_add_co_u32_e32 v0, vcc, v19, v9
	v_addc_co_u32_e32 v4, vcc, v20, v10, vcc
	buffer_load_dword v9, off, s[0:3], s32 offset:68 ; 4-byte Folded Reload
	buffer_load_dword v10, off, s[0:3], s32 offset:72 ; 4-byte Folded Reload
	s_waitcnt vmcnt(1)
	v_add_co_u32_e32 v21, vcc, v9, v0
	s_waitcnt vmcnt(0)
	v_addc_co_u32_e32 v22, vcc, v10, v4, vcc
.LBB4_296:                              ;   Parent Loop BB4_30 Depth=1
                                        ;     Parent Loop BB4_255 Depth=2
                                        ; =>    This Inner Loop Header: Depth=3
	v_mov_b32_e32 v19, v17
	v_mov_b32_e32 v20, v18
	v_add_u32_e32 v58, v58, v1
	global_store_dwordx4 v[21:22], v[17:20], off
	v_add_co_u32_e32 v21, vcc, v21, v5
	v_cmp_le_i32_e64 s[18:19], s34, v58
	s_or_b64 s[62:63], s[18:19], s[62:63]
	v_addc_co_u32_e32 v22, vcc, v22, v6, vcc
	s_andn2_b64 exec, exec, s[62:63]
	s_cbranch_execnz .LBB4_296
	s_branch .LBB4_254
.LBB4_297:                              ;   in Loop: Header=BB4_255 Depth=2
	buffer_load_dword v9, off, s[0:3], s32 offset:80 ; 4-byte Folded Reload
	buffer_load_dword v10, off, s[0:3], s32 offset:104 ; 4-byte Folded Reload
	;; [unrolled: 1-line block ×3, first 2 shown]
	v_mov_b32_e32 v36, v60
	v_mov_b32_e32 v37, v61
	s_waitcnt vmcnt(0) lgkmcnt(0)
	v_ashrrev_i32_e32 v4, 31, v0
	s_mov_b64 s[62:63], 0
	v_mov_b32_e32 v33, v48
	v_mul_lo_u32 v4, v9, v4
	v_mad_u64_u32 v[60:61], s[18:19], v9, v0, v[10:11]
	buffer_load_dword v10, off, s[0:3], s32 offset:84 ; 4-byte Folded Reload
	buffer_load_dword v20, off, s[0:3], s32 offset:96 ; 4-byte Folded Reload
	;; [unrolled: 1-line block ×3, first 2 shown]
	v_and_b32_e32 v9, 7, v34
	v_mul_lo_u32 v9, v9, s34
	s_waitcnt vmcnt(2)
	v_mul_lo_u32 v0, v10, v0
	v_ashrrev_i32_e32 v10, 31, v9
	v_lshlrev_b64 v[9:10], 4, v[9:10]
	s_waitcnt vmcnt(1)
	v_add_co_u32_e32 v11, vcc, v20, v9
	s_waitcnt vmcnt(0)
	v_addc_co_u32_e32 v9, vcc, v21, v10, vcc
	buffer_load_dword v21, off, s[0:3], s32 offset:68 ; 4-byte Folded Reload
	buffer_load_dword v22, off, s[0:3], s32 offset:72 ; 4-byte Folded Reload
	;; [unrolled: 1-line block ×4, first 2 shown]
	v_add3_u32 v61, v0, v61, v4
	v_and_b32_e32 v0, 7, v46
	v_mul_lo_u32 v19, v0, s34
	v_add_u32_e32 v10, 1, v34
	v_ashrrev_i32_e32 v20, 31, v19
	v_lshlrev_b64 v[19:20], 4, v[19:20]
	s_waitcnt vmcnt(3)
	v_add_co_u32_e32 v26, vcc, v21, v19
	s_waitcnt vmcnt(2)
	v_addc_co_u32_e32 v32, vcc, v22, v20, vcc
	s_branch .LBB4_299
.LBB4_298:                              ;   in Loop: Header=BB4_299 Depth=3
	s_or_b64 exec, exec, s[18:19]
	v_add_co_u32_e32 v60, vcc, v60, v25
	v_lshlrev_b32_e32 v0, 8, v44
	v_lshlrev_b32_e32 v20, 16, v42
	v_addc_co_u32_e32 v61, vcc, 0, v61, vcc
	v_or3_b32 v0, v0, v17, v20
	v_lshlrev_b32_e32 v20, 8, v22
	v_lshlrev_b32_e32 v21, 16, v27
	v_or3_b32 v4, v20, v4, v21
	v_add_co_u32_e32 v21, vcc, v26, v29
	v_addc_co_u32_e32 v22, vcc, v32, v30, vcc
	v_sub_u32_e32 v33, v33, v25
	v_lshlrev_b32_e32 v17, 24, v43
	v_lshlrev_b32_e32 v19, 24, v19
	v_cmp_gt_i32_e32 vcc, 1, v33
	v_or3_b32 v17, v0, v17, 0
	v_or3_b32 v19, v4, v19, 0
	v_mov_b32_e32 v20, v18
	s_or_b64 s[62:63], vcc, s[62:63]
	v_add_u32_e32 v58, v58, v1
	global_store_dwordx4 v[21:22], v[17:20], off
	s_andn2_b64 exec, exec, s[62:63]
	s_cbranch_execz .LBB4_715
.LBB4_299:                              ;   Parent Loop BB4_30 Depth=1
                                        ;     Parent Loop BB4_255 Depth=2
                                        ; =>    This Loop Header: Depth=3
                                        ;         Child Loop BB4_307 Depth 4
	v_and_b32_e32 v19, -4, v60
	v_mov_b32_e32 v20, v61
	global_load_dword v0, v[19:20], off glc slc
	v_min_u32_e32 v4, 8, v33
	v_and_b32_e32 v17, 3, v60
	v_add_u32_e32 v40, v17, v4
	v_cmp_lt_u32_e32 vcc, 4, v40
	v_mov_b32_e32 v31, 0
	v_mov_b32_e32 v45, 0
	s_and_saveexec_b64 s[18:19], vcc
	s_cbranch_execz .LBB4_301
; %bb.300:                              ;   in Loop: Header=BB4_299 Depth=3
	global_load_dword v45, v[19:20], off offset:4 glc slc
.LBB4_301:                              ;   in Loop: Header=BB4_299 Depth=3
	s_or_b64 exec, exec, s[18:19]
	v_cmp_lt_u64_e32 vcc, 8, v[40:41]
	s_and_saveexec_b64 s[18:19], vcc
	s_cbranch_execz .LBB4_303
; %bb.302:                              ;   in Loop: Header=BB4_299 Depth=3
	global_load_dword v31, v[19:20], off offset:8 glc slc
.LBB4_303:                              ;   in Loop: Header=BB4_299 Depth=3
	s_or_b64 exec, exec, s[18:19]
	s_waitcnt vmcnt(1)
	v_mov_b32_e32 v59, v41
	v_lshlrev_b64 v[29:30], 4, v[58:59]
	v_add_co_u32_e32 v27, vcc, v11, v29
	v_addc_co_u32_e32 v28, vcc, v9, v30, vcc
	global_load_dwordx4 v[19:22], v[27:28], off glc slc
	v_cmp_eq_u32_e32 vcc, 0, v12
	v_mov_b32_e32 v12, 1
	s_and_saveexec_b64 s[72:73], vcc
	s_cbranch_execz .LBB4_315
; %bb.304:                              ;   in Loop: Header=BB4_299 Depth=3
	s_waitcnt vmcnt(0)
	v_cmp_ne_u32_e32 vcc, v10, v20
	v_cmp_ne_u32_e64 s[18:19], v10, v22
	s_or_b64 s[18:19], vcc, s[18:19]
	v_mov_b32_e32 v12, 0
	s_and_saveexec_b64 s[74:75], s[18:19]
	s_cbranch_execz .LBB4_314
; %bb.305:                              ;   in Loop: Header=BB4_299 Depth=3
	s_mov_b32 s26, 1
	s_mov_b64 s[78:79], 0
                                        ; implicit-def: $sgpr76_sgpr77
                                        ; implicit-def: $sgpr88_sgpr89
	s_branch .LBB4_307
.LBB4_306:                              ;   in Loop: Header=BB4_307 Depth=4
	s_or_b64 exec, exec, s[92:93]
	s_and_b64 s[18:19], exec, s[18:19]
	s_or_b64 s[78:79], s[18:19], s[78:79]
	s_andn2_b64 s[18:19], s[76:77], exec
	s_and_b64 s[76:77], s[88:89], exec
	s_or_b64 s[76:77], s[18:19], s[76:77]
	s_andn2_b64 exec, exec, s[78:79]
	s_cbranch_execz .LBB4_311
.LBB4_307:                              ;   Parent Loop BB4_30 Depth=1
                                        ;     Parent Loop BB4_255 Depth=2
                                        ;       Parent Loop BB4_299 Depth=3
                                        ; =>      This Inner Loop Header: Depth=4
	global_load_dwordx4 v[19:22], v[27:28], off glc slc
	s_add_i32 s26, s26, 1
	s_mov_b64 s[18:19], -1
	s_cmpk_lg_i32 s26, 0x2710
	s_mov_b64 s[90:91], -1
                                        ; implicit-def: $vgpr4
	s_cbranch_scc0 .LBB4_309
; %bb.308:                              ;   in Loop: Header=BB4_307 Depth=4
	s_or_b64 s[88:89], s[88:89], exec
	s_and_saveexec_b64 s[92:93], s[90:91]
	s_cbranch_execz .LBB4_306
	s_branch .LBB4_310
.LBB4_309:                              ;   in Loop: Header=BB4_307 Depth=4
	s_trap 2
	ds_read_b64 v[23:24], v0
	s_mov_b32 s26, 0
	s_waitcnt vmcnt(0) lgkmcnt(0)
	flat_load_dword v4, v[23:24] glc
	s_waitcnt vmcnt(0) lgkmcnt(0)
	buffer_wbinvl1_vol
	v_cmp_eq_u32_e32 vcc, 0, v4
	s_orn2_b64 s[90:91], vcc, exec
	s_or_b64 s[88:89], s[88:89], exec
	s_and_saveexec_b64 s[92:93], s[90:91]
	s_cbranch_execz .LBB4_306
.LBB4_310:                              ;   in Loop: Header=BB4_307 Depth=4
	s_waitcnt vmcnt(0)
	v_cmp_eq_u32_e32 vcc, v10, v20
	v_cmp_eq_u32_e64 s[18:19], v10, v22
	s_and_b64 s[18:19], vcc, s[18:19]
	s_andn2_b64 s[88:89], s[88:89], exec
	s_orn2_b64 s[18:19], s[18:19], exec
	s_branch .LBB4_306
.LBB4_311:                              ;   in Loop: Header=BB4_299 Depth=3
	s_or_b64 exec, exec, s[78:79]
	v_mov_b32_e32 v12, 0
	s_and_saveexec_b64 s[18:19], s[76:77]
	s_xor_b64 s[18:19], exec, s[18:19]
	s_cbranch_execz .LBB4_313
; %bb.312:                              ;   in Loop: Header=BB4_299 Depth=3
	v_mov_b32_e32 v12, 1
	ds_write_b32 v0, v4
	s_trap 2
.LBB4_313:                              ;   in Loop: Header=BB4_299 Depth=3
	s_or_b64 exec, exec, s[18:19]
.LBB4_314:                              ;   in Loop: Header=BB4_299 Depth=3
	s_or_b64 exec, exec, s[74:75]
.LBB4_315:                              ;   in Loop: Header=BB4_299 Depth=3
	s_or_b64 exec, exec, s[72:73]
	v_lshlrev_b32_e32 v57, 3, v60
	s_waitcnt vmcnt(1)
	v_alignbit_b32 v40, v45, v0, v57
	v_cmp_ne_u16_sdwa s[72:73], v40, v41 src0_sel:BYTE_0 src1_sel:DWORD
	v_mov_b32_e32 v0, 0
	s_and_saveexec_b64 s[18:19], s[72:73]
	s_cbranch_execz .LBB4_321
; %bb.316:                              ;   in Loop: Header=BB4_299 Depth=3
	v_cmp_ne_u16_sdwa s[74:75], v40, s36 src0_sel:BYTE_0 src1_sel:DWORD
	v_bfrev_b32_e32 v0, 1
	s_and_saveexec_b64 s[72:73], s[74:75]
	s_cbranch_execz .LBB4_320
; %bb.317:                              ;   in Loop: Header=BB4_299 Depth=3
	v_and_b32_e32 v4, 0x7f, v40
	v_cmp_ne_u32_e32 vcc, s37, v4
	v_mov_b32_e32 v0, 0x7f800001
	s_and_saveexec_b64 s[74:75], vcc
	s_cbranch_execz .LBB4_319
; %bb.318:                              ;   in Loop: Header=BB4_299 Depth=3
	v_and_b32_e32 v0, 7, v40
	v_ffbh_u32_e32 v0, v0
	v_min_u32_e32 v0, 32, v0
	v_lshrrev_b32_e32 v17, 3, v4
	v_cmp_gt_u32_e32 vcc, 8, v4
	v_subrev_u32_e32 v4, 28, v0
	v_cndmask_b32_e32 v4, 0, v4, vcc
	v_lshlrev_b64 v[23:24], v4, v[40:41]
	v_sub_u32_e32 v0, 29, v0
	v_cndmask_b32_e32 v0, v17, v0, vcc
	v_lshlrev_b32_e32 v4, 20, v23
	v_lshlrev_b32_e32 v17, 24, v40
	v_and_b32_e32 v4, 0x700000, v4
	v_and_b32_e32 v17, 0x80000000, v17
	v_lshl_add_u32 v0, v0, 23, v7
	v_or3_b32 v0, v17, v0, v4
.LBB4_319:                              ;   in Loop: Header=BB4_299 Depth=3
	s_or_b64 exec, exec, s[74:75]
.LBB4_320:                              ;   in Loop: Header=BB4_299 Depth=3
	s_or_b64 exec, exec, s[72:73]
.LBB4_321:                              ;   in Loop: Header=BB4_299 Depth=3
	s_or_b64 exec, exec, s[18:19]
	v_mul_f32_e32 v4, v62, v0
	v_and_b32_e32 v23, 0x7f800000, v4
	v_mov_b32_e32 v24, v41
	v_cmp_ne_u64_e32 vcc, s[46:47], v[23:24]
                                        ; implicit-def: $vgpr17
	s_and_saveexec_b64 s[18:19], vcc
	s_xor_b64 s[72:73], exec, s[18:19]
	s_cbranch_execz .LBB4_335
; %bb.322:                              ;   in Loop: Header=BB4_299 Depth=3
	v_and_b32_e32 v23, 0x7fffffff, v4
	v_mov_b32_e32 v24, v41
	v_cmp_gt_u64_e32 vcc, s[56:57], v[23:24]
	v_and_b32_sdwa v0, v4, s36 dst_sel:DWORD dst_unused:UNUSED_PAD src0_sel:BYTE_3 src1_sel:DWORD
                                        ; implicit-def: $vgpr17
	s_and_saveexec_b64 s[18:19], vcc
	s_xor_b64 s[74:75], exec, s[18:19]
	s_cbranch_execz .LBB4_332
; %bb.323:                              ;   in Loop: Header=BB4_299 Depth=3
	v_mov_b32_e32 v17, 0
	v_cmp_ne_u32_e32 vcc, 0, v4
	s_and_saveexec_b64 s[76:77], vcc
	s_cbranch_execz .LBB4_331
; %bb.324:                              ;   in Loop: Header=BB4_299 Depth=3
	v_and_b32_e32 v23, 0x7fffff, v4
	v_bfe_u32 v4, v4, 23, 8
	v_cmp_gt_u32_e64 s[18:19], s38, v4
	v_sub_u32_e32 v17, 0x79, v4
	v_cmp_eq_u32_e32 vcc, 0, v4
	v_cndmask_b32_e64 v17, 0, v17, s[18:19]
	v_cndmask_b32_e32 v17, v17, v8, vcc
	v_add_u32_e32 v27, 20, v17
	v_or_b32_e32 v24, 0x800000, v23
	v_lshlrev_b64 v[27:28], v27, -1
	v_add_u32_e32 v42, 19, v17
	v_cndmask_b32_e32 v23, v24, v23, vcc
	v_lshlrev_b64 v[42:43], v42, 1
	v_mov_b32_e32 v24, v41
	v_bfi_b32 v28, v28, 0, 0
	v_bfi_b32 v27, v27, 0, v23
	v_cmp_eq_u64_e64 s[18:19], v[27:28], v[42:43]
	v_lshrrev_b64 v[27:28], v17, v[23:24]
	v_mov_b32_e32 v43, v28
	v_mov_b32_e32 v42, v27
	s_and_saveexec_b64 s[78:79], s[18:19]
; %bb.325:                              ;   in Loop: Header=BB4_299 Depth=3
	v_bfe_u32 v23, v27, 20, 1
	v_add_co_u32_e64 v23, s[18:19], v27, v23
	v_add_co_u32_e64 v42, s[18:19], -1, v23
; %bb.326:                              ;   in Loop: Header=BB4_299 Depth=3
	s_or_b64 exec, exec, s[78:79]
	v_add_u32_e32 v4, 0xffffff81, v4
	v_cndmask_b32_e32 v4, v4, v54, vcc
	v_lshrrev_b32_e32 v23, 23, v27
	v_add3_u32 v23, v17, v4, v23
	v_add_u32_e32 v17, 6, v23
	v_and_b32_e32 v4, 0xfffff, v42
	v_add_u32_e32 v27, v4, v27
	v_mov_b32_e32 v28, v41
	v_cmp_ne_u32_e32 vcc, 0, v17
                                        ; implicit-def: $vgpr4
	s_and_saveexec_b64 s[18:19], vcc
	s_xor_b64 s[18:19], exec, s[18:19]
; %bb.327:                              ;   in Loop: Header=BB4_299 Depth=3
	v_cmp_lt_u64_e32 vcc, s[58:59], v[27:28]
	v_add_u32_e32 v4, 7, v23
	v_cndmask_b32_e32 v4, v17, v4, vcc
	v_cndmask_b32_e64 v17, 0, 1, vcc
	v_lshrrev_b64 v[27:28], v17, v[27:28]
; %bb.328:                              ;   in Loop: Header=BB4_299 Depth=3
	s_andn2_saveexec_b64 s[18:19], s[18:19]
; %bb.329:                              ;   in Loop: Header=BB4_299 Depth=3
	v_bfe_u32 v4, v27, 23, 1
; %bb.330:                              ;   in Loop: Header=BB4_299 Depth=3
	s_or_b64 exec, exec, s[18:19]
	v_lshrrev_b64 v[23:24], 20, v[27:28]
	v_cmp_gt_i32_e32 vcc, 16, v4
	v_cndmask_b32_e32 v24, 0, v24, vcc
	v_cndmask_b32_e32 v23, 7, v23, vcc
	v_cmp_eq_u32_e32 vcc, 0, v4
	v_min_i32_e32 v4, 15, v4
	v_cmp_eq_u64_e64 s[18:19], 0, v[23:24]
	v_lshlrev_b32_e32 v4, 3, v4
	v_and_b32_e32 v4, 0xf8, v4
	v_and_or_b32 v4, v23, 7, v4
	s_and_b64 s[18:19], vcc, s[18:19]
	v_cndmask_b32_e64 v4, v4, 0, s[18:19]
	v_or_b32_e32 v17, v4, v0
.LBB4_331:                              ;   in Loop: Header=BB4_299 Depth=3
	s_or_b64 exec, exec, s[76:77]
                                        ; implicit-def: $vgpr0
.LBB4_332:                              ;   in Loop: Header=BB4_299 Depth=3
	s_andn2_saveexec_b64 s[18:19], s[74:75]
; %bb.333:                              ;   in Loop: Header=BB4_299 Depth=3
	v_or_b32_e32 v17, 0x7e, v0
; %bb.334:                              ;   in Loop: Header=BB4_299 Depth=3
	s_or_b64 exec, exec, s[18:19]
                                        ; implicit-def: $vgpr4
.LBB4_335:                              ;   in Loop: Header=BB4_299 Depth=3
	s_andn2_saveexec_b64 s[18:19], s[72:73]
; %bb.336:                              ;   in Loop: Header=BB4_299 Depth=3
	v_or_b32_sdwa v17, v4, s37 dst_sel:DWORD dst_unused:UNUSED_PAD src0_sel:BYTE_3 src1_sel:DWORD
; %bb.337:                              ;   in Loop: Header=BB4_299 Depth=3
	s_or_b64 exec, exec, s[18:19]
	v_lshrrev_b16_e32 v0, 8, v40
	v_cmp_ne_u16_e32 vcc, 0, v0
	v_mov_b32_e32 v4, 0
	s_and_saveexec_b64 s[18:19], vcc
	s_cbranch_execz .LBB4_343
; %bb.338:                              ;   in Loop: Header=BB4_299 Depth=3
	v_cmp_ne_u16_e32 vcc, s36, v0
	v_bfrev_b32_e32 v4, 1
	s_and_saveexec_b64 s[72:73], vcc
	s_cbranch_execz .LBB4_342
; %bb.339:                              ;   in Loop: Header=BB4_299 Depth=3
	v_and_b32_e32 v23, 0x7f, v0
	v_cmp_ne_u32_e32 vcc, s37, v23
	v_mov_b32_e32 v4, 0x7f800001
	s_and_saveexec_b64 s[74:75], vcc
	s_cbranch_execz .LBB4_341
; %bb.340:                              ;   in Loop: Header=BB4_299 Depth=3
	v_and_b32_e32 v4, 7, v0
	v_lshrrev_b32_e32 v27, 3, v23
	v_cmp_gt_u32_e32 vcc, 8, v23
	v_ffbh_u32_e32 v23, v4
	v_min_u32_e32 v28, 32, v23
	v_subrev_u32_e32 v23, 28, v28
	v_lshlrev_b64 v[23:24], v23, v[0:1]
	v_sub_u32_e32 v0, 29, v28
	v_and_b32_e32 v23, 7, v23
	v_cndmask_b32_e32 v0, v27, v0, vcc
	v_cndmask_b32_e32 v4, v4, v23, vcc
	v_lshlrev_b32_e32 v23, 16, v40
	v_lshlrev_b32_e32 v4, 20, v4
	v_and_b32_e32 v23, 0x80000000, v23
	v_lshl_add_u32 v0, v0, 23, v7
	v_or3_b32 v4, v23, v0, v4
.LBB4_341:                              ;   in Loop: Header=BB4_299 Depth=3
	s_or_b64 exec, exec, s[74:75]
.LBB4_342:                              ;   in Loop: Header=BB4_299 Depth=3
	s_or_b64 exec, exec, s[72:73]
.LBB4_343:                              ;   in Loop: Header=BB4_299 Depth=3
	s_or_b64 exec, exec, s[18:19]
	v_mul_f32_e32 v4, v62, v4
	v_and_b32_e32 v23, 0x7f800000, v4
	v_mov_b32_e32 v24, v41
	v_cmp_ne_u64_e32 vcc, s[46:47], v[23:24]
                                        ; implicit-def: $vgpr44
	s_and_saveexec_b64 s[18:19], vcc
	s_xor_b64 s[72:73], exec, s[18:19]
	s_cbranch_execz .LBB4_357
; %bb.344:                              ;   in Loop: Header=BB4_299 Depth=3
	v_and_b32_e32 v23, 0x7fffffff, v4
	v_mov_b32_e32 v24, v41
	v_cmp_gt_u64_e32 vcc, s[56:57], v[23:24]
	v_and_b32_sdwa v0, v4, s36 dst_sel:DWORD dst_unused:UNUSED_PAD src0_sel:BYTE_3 src1_sel:DWORD
                                        ; implicit-def: $vgpr44
	s_and_saveexec_b64 s[18:19], vcc
	s_xor_b64 s[74:75], exec, s[18:19]
	s_cbranch_execz .LBB4_354
; %bb.345:                              ;   in Loop: Header=BB4_299 Depth=3
	v_mov_b32_e32 v44, 0
	v_cmp_ne_u32_e32 vcc, 0, v4
	s_and_saveexec_b64 s[76:77], vcc
	s_cbranch_execz .LBB4_353
; %bb.346:                              ;   in Loop: Header=BB4_299 Depth=3
	v_and_b32_e32 v23, 0x7fffff, v4
	v_bfe_u32 v4, v4, 23, 8
	v_cmp_gt_u32_e64 s[18:19], s38, v4
	v_sub_u32_e32 v24, 0x79, v4
	v_cmp_eq_u32_e32 vcc, 0, v4
	v_cndmask_b32_e64 v24, 0, v24, s[18:19]
	v_or_b32_e32 v27, 0x800000, v23
	v_cndmask_b32_e32 v44, v24, v8, vcc
	v_cndmask_b32_e32 v23, v27, v23, vcc
	v_add_u32_e32 v27, 20, v44
	v_lshlrev_b64 v[27:28], v27, -1
	v_add_u32_e32 v42, 19, v44
	v_lshlrev_b64 v[42:43], v42, 1
	v_mov_b32_e32 v24, v41
	v_bfi_b32 v28, v28, 0, 0
	v_bfi_b32 v27, v27, 0, v23
	v_cmp_eq_u64_e64 s[18:19], v[27:28], v[42:43]
	v_lshrrev_b64 v[27:28], v44, v[23:24]
	v_mov_b32_e32 v43, v28
	v_mov_b32_e32 v42, v27
	s_and_saveexec_b64 s[78:79], s[18:19]
; %bb.347:                              ;   in Loop: Header=BB4_299 Depth=3
	v_bfe_u32 v23, v27, 20, 1
	v_add_co_u32_e64 v23, s[18:19], v27, v23
	v_add_co_u32_e64 v42, s[18:19], -1, v23
; %bb.348:                              ;   in Loop: Header=BB4_299 Depth=3
	s_or_b64 exec, exec, s[78:79]
	v_add_u32_e32 v4, 0xffffff81, v4
	v_cndmask_b32_e32 v4, v4, v54, vcc
	v_lshrrev_b32_e32 v23, 23, v27
	v_add3_u32 v24, v44, v4, v23
	v_add_u32_e32 v23, 6, v24
	v_and_b32_e32 v4, 0xfffff, v42
	v_add_u32_e32 v27, v4, v27
	v_mov_b32_e32 v28, v41
	v_cmp_ne_u32_e32 vcc, 0, v23
                                        ; implicit-def: $vgpr4
	s_and_saveexec_b64 s[18:19], vcc
	s_xor_b64 s[18:19], exec, s[18:19]
; %bb.349:                              ;   in Loop: Header=BB4_299 Depth=3
	v_cmp_lt_u64_e32 vcc, s[58:59], v[27:28]
	v_add_u32_e32 v4, 7, v24
	v_cndmask_b32_e32 v4, v23, v4, vcc
	v_cndmask_b32_e64 v23, 0, 1, vcc
	v_lshrrev_b64 v[27:28], v23, v[27:28]
; %bb.350:                              ;   in Loop: Header=BB4_299 Depth=3
	s_andn2_saveexec_b64 s[18:19], s[18:19]
; %bb.351:                              ;   in Loop: Header=BB4_299 Depth=3
	v_bfe_u32 v4, v27, 23, 1
; %bb.352:                              ;   in Loop: Header=BB4_299 Depth=3
	s_or_b64 exec, exec, s[18:19]
	v_lshrrev_b64 v[23:24], 20, v[27:28]
	v_cmp_gt_i32_e32 vcc, 16, v4
	v_cndmask_b32_e32 v24, 0, v24, vcc
	v_cndmask_b32_e32 v23, 7, v23, vcc
	v_cmp_eq_u32_e32 vcc, 0, v4
	v_min_i32_e32 v4, 15, v4
	v_cmp_eq_u64_e64 s[18:19], 0, v[23:24]
	v_lshlrev_b32_e32 v4, 3, v4
	v_and_b32_e32 v4, 0xf8, v4
	v_and_or_b32 v4, v23, 7, v4
	s_and_b64 s[18:19], vcc, s[18:19]
	v_cndmask_b32_e64 v4, v4, 0, s[18:19]
	v_or_b32_e32 v44, v4, v0
.LBB4_353:                              ;   in Loop: Header=BB4_299 Depth=3
	s_or_b64 exec, exec, s[76:77]
                                        ; implicit-def: $vgpr0
.LBB4_354:                              ;   in Loop: Header=BB4_299 Depth=3
	s_andn2_saveexec_b64 s[18:19], s[74:75]
; %bb.355:                              ;   in Loop: Header=BB4_299 Depth=3
	v_or_b32_e32 v44, 0x7e, v0
; %bb.356:                              ;   in Loop: Header=BB4_299 Depth=3
	s_or_b64 exec, exec, s[18:19]
                                        ; implicit-def: $vgpr4
.LBB4_357:                              ;   in Loop: Header=BB4_299 Depth=3
	s_andn2_saveexec_b64 s[18:19], s[72:73]
; %bb.358:                              ;   in Loop: Header=BB4_299 Depth=3
	v_or_b32_sdwa v44, v4, s37 dst_sel:DWORD dst_unused:UNUSED_PAD src0_sel:BYTE_3 src1_sel:DWORD
; %bb.359:                              ;   in Loop: Header=BB4_299 Depth=3
	s_or_b64 exec, exec, s[18:19]
	v_and_b32_sdwa v23, v40, s35 dst_sel:DWORD dst_unused:UNUSED_PAD src0_sel:WORD_1 src1_sel:DWORD
	v_lshrrev_b32_e32 v0, 16, v40
	v_cmp_ne_u16_e32 vcc, 0, v23
	v_mov_b32_e32 v4, 0
	s_and_saveexec_b64 s[18:19], vcc
	s_cbranch_execz .LBB4_365
; %bb.360:                              ;   in Loop: Header=BB4_299 Depth=3
	v_cmp_ne_u16_e32 vcc, s36, v23
	v_bfrev_b32_e32 v4, 1
	s_and_saveexec_b64 s[72:73], vcc
	s_cbranch_execz .LBB4_364
; %bb.361:                              ;   in Loop: Header=BB4_299 Depth=3
	v_bfe_u32 v23, v40, 16, 7
	v_cmp_ne_u32_e32 vcc, s37, v23
	v_mov_b32_e32 v4, 0x7f800001
	s_and_saveexec_b64 s[74:75], vcc
	s_cbranch_execz .LBB4_363
; %bb.362:                              ;   in Loop: Header=BB4_299 Depth=3
	v_and_b32_e32 v4, 7, v0
	v_lshrrev_b32_e32 v27, 3, v23
	v_cmp_gt_u32_e32 vcc, 8, v23
	v_ffbh_u32_e32 v23, v4
	v_min_u32_e32 v28, 32, v23
	v_subrev_u32_e32 v23, 28, v28
	v_lshlrev_b64 v[23:24], v23, v[0:1]
	v_sub_u32_e32 v0, 29, v28
	v_and_b32_e32 v23, 7, v23
	v_cndmask_b32_e32 v0, v27, v0, vcc
	v_cndmask_b32_e32 v4, v4, v23, vcc
	v_lshlrev_b32_sdwa v23, v55, v40 dst_sel:DWORD dst_unused:UNUSED_PAD src0_sel:DWORD src1_sel:WORD_1
	v_lshlrev_b32_e32 v4, 20, v4
	v_and_b32_e32 v23, 0x80000000, v23
	v_lshl_add_u32 v0, v0, 23, v7
	v_or3_b32 v4, v23, v0, v4
.LBB4_363:                              ;   in Loop: Header=BB4_299 Depth=3
	s_or_b64 exec, exec, s[74:75]
.LBB4_364:                              ;   in Loop: Header=BB4_299 Depth=3
	s_or_b64 exec, exec, s[72:73]
.LBB4_365:                              ;   in Loop: Header=BB4_299 Depth=3
	s_or_b64 exec, exec, s[18:19]
	v_mul_f32_e32 v4, v62, v4
	v_and_b32_e32 v23, 0x7f800000, v4
	v_mov_b32_e32 v24, v41
	v_cmp_ne_u64_e32 vcc, s[46:47], v[23:24]
                                        ; implicit-def: $vgpr56
	s_and_saveexec_b64 s[18:19], vcc
	s_xor_b64 s[72:73], exec, s[18:19]
	s_cbranch_execz .LBB4_379
; %bb.366:                              ;   in Loop: Header=BB4_299 Depth=3
	v_and_b32_e32 v23, 0x7fffffff, v4
	v_mov_b32_e32 v24, v41
	v_cmp_gt_u64_e32 vcc, s[56:57], v[23:24]
	v_and_b32_sdwa v0, v4, s36 dst_sel:DWORD dst_unused:UNUSED_PAD src0_sel:BYTE_3 src1_sel:DWORD
                                        ; implicit-def: $vgpr56
	s_and_saveexec_b64 s[18:19], vcc
	s_xor_b64 s[74:75], exec, s[18:19]
	s_cbranch_execz .LBB4_376
; %bb.367:                              ;   in Loop: Header=BB4_299 Depth=3
	v_mov_b32_e32 v56, 0
	v_cmp_ne_u32_e32 vcc, 0, v4
	s_and_saveexec_b64 s[76:77], vcc
	s_cbranch_execz .LBB4_375
; %bb.368:                              ;   in Loop: Header=BB4_299 Depth=3
	v_and_b32_e32 v23, 0x7fffff, v4
	v_bfe_u32 v4, v4, 23, 8
	v_cmp_gt_u32_e64 s[18:19], s38, v4
	v_sub_u32_e32 v24, 0x79, v4
	v_cmp_eq_u32_e32 vcc, 0, v4
	v_cndmask_b32_e64 v24, 0, v24, s[18:19]
	v_or_b32_e32 v27, 0x800000, v23
	v_cndmask_b32_e32 v56, v24, v8, vcc
	v_cndmask_b32_e32 v23, v27, v23, vcc
	v_add_u32_e32 v27, 20, v56
	v_lshlrev_b64 v[27:28], v27, -1
	v_add_u32_e32 v42, 19, v56
	v_lshlrev_b64 v[42:43], v42, 1
	v_mov_b32_e32 v24, v41
	v_bfi_b32 v28, v28, 0, 0
	v_bfi_b32 v27, v27, 0, v23
	v_cmp_eq_u64_e64 s[18:19], v[27:28], v[42:43]
	v_lshrrev_b64 v[27:28], v56, v[23:24]
	v_mov_b32_e32 v43, v28
	v_mov_b32_e32 v42, v27
	s_and_saveexec_b64 s[78:79], s[18:19]
; %bb.369:                              ;   in Loop: Header=BB4_299 Depth=3
	v_bfe_u32 v23, v27, 20, 1
	v_add_co_u32_e64 v23, s[18:19], v27, v23
	v_add_co_u32_e64 v42, s[18:19], -1, v23
; %bb.370:                              ;   in Loop: Header=BB4_299 Depth=3
	s_or_b64 exec, exec, s[78:79]
	v_add_u32_e32 v4, 0xffffff81, v4
	v_cndmask_b32_e32 v4, v4, v54, vcc
	v_lshrrev_b32_e32 v23, 23, v27
	v_add3_u32 v24, v56, v4, v23
	v_add_u32_e32 v23, 6, v24
	v_and_b32_e32 v4, 0xfffff, v42
	v_add_u32_e32 v27, v4, v27
	v_mov_b32_e32 v28, v41
	v_cmp_ne_u32_e32 vcc, 0, v23
                                        ; implicit-def: $vgpr4
	s_and_saveexec_b64 s[18:19], vcc
	s_xor_b64 s[18:19], exec, s[18:19]
; %bb.371:                              ;   in Loop: Header=BB4_299 Depth=3
	v_cmp_lt_u64_e32 vcc, s[58:59], v[27:28]
	v_add_u32_e32 v4, 7, v24
	v_cndmask_b32_e32 v4, v23, v4, vcc
	v_cndmask_b32_e64 v23, 0, 1, vcc
	v_lshrrev_b64 v[27:28], v23, v[27:28]
; %bb.372:                              ;   in Loop: Header=BB4_299 Depth=3
	s_andn2_saveexec_b64 s[18:19], s[18:19]
; %bb.373:                              ;   in Loop: Header=BB4_299 Depth=3
	v_bfe_u32 v4, v27, 23, 1
; %bb.374:                              ;   in Loop: Header=BB4_299 Depth=3
	s_or_b64 exec, exec, s[18:19]
	v_lshrrev_b64 v[23:24], 20, v[27:28]
	v_cmp_gt_i32_e32 vcc, 16, v4
	v_cndmask_b32_e32 v24, 0, v24, vcc
	v_cndmask_b32_e32 v23, 7, v23, vcc
	v_cmp_eq_u32_e32 vcc, 0, v4
	v_min_i32_e32 v4, 15, v4
	v_cmp_eq_u64_e64 s[18:19], 0, v[23:24]
	v_lshlrev_b32_e32 v4, 3, v4
	v_and_b32_e32 v4, 0xf8, v4
	v_and_or_b32 v4, v23, 7, v4
	s_and_b64 s[18:19], vcc, s[18:19]
	v_cndmask_b32_e64 v4, v4, 0, s[18:19]
	v_or_b32_e32 v56, v4, v0
.LBB4_375:                              ;   in Loop: Header=BB4_299 Depth=3
	s_or_b64 exec, exec, s[76:77]
                                        ; implicit-def: $vgpr0
.LBB4_376:                              ;   in Loop: Header=BB4_299 Depth=3
	s_andn2_saveexec_b64 s[18:19], s[74:75]
; %bb.377:                              ;   in Loop: Header=BB4_299 Depth=3
	v_or_b32_e32 v56, 0x7e, v0
; %bb.378:                              ;   in Loop: Header=BB4_299 Depth=3
	s_or_b64 exec, exec, s[18:19]
                                        ; implicit-def: $vgpr4
.LBB4_379:                              ;   in Loop: Header=BB4_299 Depth=3
	s_andn2_saveexec_b64 s[18:19], s[72:73]
; %bb.380:                              ;   in Loop: Header=BB4_299 Depth=3
	v_or_b32_sdwa v56, v4, s37 dst_sel:DWORD dst_unused:UNUSED_PAD src0_sel:BYTE_3 src1_sel:DWORD
; %bb.381:                              ;   in Loop: Header=BB4_299 Depth=3
	s_or_b64 exec, exec, s[18:19]
	v_cmp_lt_u32_e32 vcc, s39, v40
	v_mov_b32_e32 v4, 0
	s_and_saveexec_b64 s[18:19], vcc
	s_cbranch_execz .LBB4_387
; %bb.382:                              ;   in Loop: Header=BB4_299 Depth=3
	v_lshrrev_b32_e32 v0, 24, v40
	v_cmp_ne_u32_sdwa s[74:75], v40, s36 src0_sel:BYTE_3 src1_sel:DWORD
	v_bfrev_b32_e32 v4, 1
	s_and_saveexec_b64 s[72:73], s[74:75]
	s_cbranch_execz .LBB4_386
; %bb.383:                              ;   in Loop: Header=BB4_299 Depth=3
	v_bfe_u32 v23, v40, 24, 7
	v_cmp_ne_u32_e32 vcc, s37, v23
	v_mov_b32_e32 v4, 0x7f800001
	s_and_saveexec_b64 s[74:75], vcc
	s_cbranch_execz .LBB4_385
; %bb.384:                              ;   in Loop: Header=BB4_299 Depth=3
	v_and_b32_e32 v4, 7, v0
	v_lshrrev_b32_e32 v27, 3, v23
	v_cmp_gt_u32_e32 vcc, 8, v23
	v_ffbh_u32_e32 v23, v4
	v_min_u32_e32 v28, 32, v23
	v_subrev_u32_e32 v23, 28, v28
	v_lshlrev_b64 v[23:24], v23, v[0:1]
	v_sub_u32_e32 v0, 29, v28
	v_and_b32_e32 v23, 7, v23
	v_cndmask_b32_e32 v0, v27, v0, vcc
	v_cndmask_b32_e32 v4, v4, v23, vcc
	v_lshlrev_b32_sdwa v23, v55, v40 dst_sel:DWORD dst_unused:UNUSED_PAD src0_sel:DWORD src1_sel:BYTE_3
	v_lshlrev_b32_e32 v4, 20, v4
	v_and_b32_e32 v23, 0x80000000, v23
	v_lshl_add_u32 v0, v0, 23, v7
	v_or3_b32 v4, v23, v0, v4
.LBB4_385:                              ;   in Loop: Header=BB4_299 Depth=3
	s_or_b64 exec, exec, s[74:75]
.LBB4_386:                              ;   in Loop: Header=BB4_299 Depth=3
	s_or_b64 exec, exec, s[72:73]
.LBB4_387:                              ;   in Loop: Header=BB4_299 Depth=3
	s_or_b64 exec, exec, s[18:19]
	v_mul_f32_e32 v27, v62, v4
	v_and_b32_e32 v40, 0x7f800000, v27
	v_cmp_ne_u64_e32 vcc, s[46:47], v[40:41]
                                        ; implicit-def: $vgpr4
	s_and_saveexec_b64 s[18:19], vcc
	s_xor_b64 s[72:73], exec, s[18:19]
	s_cbranch_execz .LBB4_401
; %bb.388:                              ;   in Loop: Header=BB4_299 Depth=3
	v_and_b32_e32 v40, 0x7fffffff, v27
	v_cmp_gt_u64_e32 vcc, s[56:57], v[40:41]
	v_and_b32_sdwa v0, v27, s36 dst_sel:DWORD dst_unused:UNUSED_PAD src0_sel:BYTE_3 src1_sel:DWORD
                                        ; implicit-def: $vgpr4
	s_and_saveexec_b64 s[18:19], vcc
	s_xor_b64 s[74:75], exec, s[18:19]
	s_cbranch_execz .LBB4_398
; %bb.389:                              ;   in Loop: Header=BB4_299 Depth=3
	v_mov_b32_e32 v4, 0
	v_cmp_ne_u32_e32 vcc, 0, v27
	s_and_saveexec_b64 s[76:77], vcc
	s_cbranch_execz .LBB4_397
; %bb.390:                              ;   in Loop: Header=BB4_299 Depth=3
	v_bfe_u32 v4, v27, 23, 8
	v_cmp_gt_u32_e64 s[18:19], s38, v4
	v_sub_u32_e32 v24, 0x79, v4
	v_and_b32_e32 v23, 0x7fffff, v27
	v_cmp_eq_u32_e32 vcc, 0, v4
	v_cndmask_b32_e64 v24, 0, v24, s[18:19]
	v_or_b32_e32 v27, 0x800000, v23
	v_cndmask_b32_e32 v59, v24, v8, vcc
	v_cndmask_b32_e32 v40, v27, v23, vcc
	v_add_u32_e32 v23, 20, v59
	v_lshlrev_b64 v[23:24], v23, -1
	v_add_u32_e32 v27, 19, v59
	v_lshlrev_b64 v[27:28], v27, 1
	v_bfi_b32 v24, v24, 0, 0
	v_bfi_b32 v23, v23, 0, v40
	v_cmp_eq_u64_e64 s[18:19], v[23:24], v[27:28]
	v_lshrrev_b64 v[27:28], v59, v[40:41]
	v_mov_b32_e32 v43, v28
	v_mov_b32_e32 v42, v27
	s_and_saveexec_b64 s[78:79], s[18:19]
; %bb.391:                              ;   in Loop: Header=BB4_299 Depth=3
	v_bfe_u32 v23, v27, 20, 1
	v_add_co_u32_e64 v23, s[18:19], v27, v23
	v_add_co_u32_e64 v42, s[18:19], -1, v23
; %bb.392:                              ;   in Loop: Header=BB4_299 Depth=3
	s_or_b64 exec, exec, s[78:79]
	v_add_u32_e32 v4, 0xffffff81, v4
	v_cndmask_b32_e32 v4, v4, v54, vcc
	v_lshrrev_b32_e32 v23, 23, v27
	v_add3_u32 v24, v59, v4, v23
	v_add_u32_e32 v23, 6, v24
	v_and_b32_e32 v4, 0xfffff, v42
	v_add_u32_e32 v40, v4, v27
	v_cmp_ne_u32_e32 vcc, 0, v23
                                        ; implicit-def: $vgpr27_vgpr28
                                        ; implicit-def: $vgpr4
	s_and_saveexec_b64 s[18:19], vcc
	s_xor_b64 s[18:19], exec, s[18:19]
; %bb.393:                              ;   in Loop: Header=BB4_299 Depth=3
	v_cmp_lt_u64_e32 vcc, s[58:59], v[40:41]
	v_add_u32_e32 v4, 7, v24
	v_cndmask_b32_e32 v4, v23, v4, vcc
	v_cndmask_b32_e64 v23, 0, 1, vcc
	v_lshrrev_b64 v[27:28], v23, v[40:41]
; %bb.394:                              ;   in Loop: Header=BB4_299 Depth=3
	s_andn2_saveexec_b64 s[18:19], s[18:19]
; %bb.395:                              ;   in Loop: Header=BB4_299 Depth=3
	v_mov_b32_e32 v27, v40
	v_bfe_u32 v4, v40, 23, 1
	v_mov_b32_e32 v28, v41
; %bb.396:                              ;   in Loop: Header=BB4_299 Depth=3
	s_or_b64 exec, exec, s[18:19]
	v_lshrrev_b64 v[23:24], 20, v[27:28]
	v_cmp_gt_i32_e32 vcc, 16, v4
	v_cndmask_b32_e32 v24, 0, v24, vcc
	v_cndmask_b32_e32 v23, 7, v23, vcc
	v_cmp_eq_u32_e32 vcc, 0, v4
	v_min_i32_e32 v4, 15, v4
	v_cmp_eq_u64_e64 s[18:19], 0, v[23:24]
	v_lshlrev_b32_e32 v4, 3, v4
	v_and_b32_e32 v4, 0xf8, v4
	v_and_or_b32 v4, v23, 7, v4
	s_and_b64 s[18:19], vcc, s[18:19]
	v_cndmask_b32_e64 v4, v4, 0, s[18:19]
	v_or_b32_e32 v4, v4, v0
.LBB4_397:                              ;   in Loop: Header=BB4_299 Depth=3
	s_or_b64 exec, exec, s[76:77]
                                        ; implicit-def: $vgpr0
.LBB4_398:                              ;   in Loop: Header=BB4_299 Depth=3
	s_andn2_saveexec_b64 s[18:19], s[74:75]
; %bb.399:                              ;   in Loop: Header=BB4_299 Depth=3
	v_or_b32_e32 v4, 0x7e, v0
; %bb.400:                              ;   in Loop: Header=BB4_299 Depth=3
	s_or_b64 exec, exec, s[18:19]
                                        ; implicit-def: $vgpr27
.LBB4_401:                              ;   in Loop: Header=BB4_299 Depth=3
	s_andn2_saveexec_b64 s[18:19], s[72:73]
; %bb.402:                              ;   in Loop: Header=BB4_299 Depth=3
	v_or_b32_sdwa v4, v27, s37 dst_sel:DWORD dst_unused:UNUSED_PAD src0_sel:BYTE_3 src1_sel:DWORD
; %bb.403:                              ;   in Loop: Header=BB4_299 Depth=3
	s_or_b64 exec, exec, s[18:19]
	v_alignbit_b32 v40, v31, v45, v57
	v_cmp_ne_u16_sdwa s[72:73], v40, v41 src0_sel:BYTE_0 src1_sel:DWORD
	v_mov_b32_e32 v0, 0
	s_and_saveexec_b64 s[18:19], s[72:73]
	s_cbranch_execz .LBB4_409
; %bb.404:                              ;   in Loop: Header=BB4_299 Depth=3
	v_cmp_ne_u16_sdwa s[74:75], v40, s36 src0_sel:BYTE_0 src1_sel:DWORD
	v_bfrev_b32_e32 v0, 1
	s_and_saveexec_b64 s[72:73], s[74:75]
	s_cbranch_execz .LBB4_408
; %bb.405:                              ;   in Loop: Header=BB4_299 Depth=3
	v_and_b32_e32 v23, 0x7f, v40
	v_cmp_ne_u32_e32 vcc, s37, v23
	v_mov_b32_e32 v0, 0x7f800001
	s_and_saveexec_b64 s[74:75], vcc
	s_cbranch_execz .LBB4_407
; %bb.406:                              ;   in Loop: Header=BB4_299 Depth=3
	v_and_b32_e32 v0, 7, v40
	v_ffbh_u32_e32 v0, v0
	v_min_u32_e32 v0, 32, v0
	v_lshrrev_b32_e32 v24, 3, v23
	v_cmp_gt_u32_e32 vcc, 8, v23
	v_subrev_u32_e32 v23, 28, v0
	v_sub_u32_e32 v0, 29, v0
	v_cndmask_b32_e32 v23, 0, v23, vcc
	v_cndmask_b32_e32 v0, v24, v0, vcc
	v_lshlrev_b64 v[23:24], v23, v[40:41]
	v_lshlrev_b32_e32 v24, 24, v40
	v_lshlrev_b32_e32 v23, 20, v23
	v_and_b32_e32 v23, 0x700000, v23
	v_and_b32_e32 v24, 0x80000000, v24
	v_lshl_add_u32 v0, v0, 23, v7
	v_or3_b32 v0, v24, v0, v23
.LBB4_407:                              ;   in Loop: Header=BB4_299 Depth=3
	s_or_b64 exec, exec, s[74:75]
.LBB4_408:                              ;   in Loop: Header=BB4_299 Depth=3
	s_or_b64 exec, exec, s[72:73]
.LBB4_409:                              ;   in Loop: Header=BB4_299 Depth=3
	s_or_b64 exec, exec, s[18:19]
	v_mul_f32_e32 v27, v62, v0
	v_and_b32_e32 v23, 0x7f800000, v27
	v_mov_b32_e32 v24, v41
	v_cmp_ne_u64_e32 vcc, s[46:47], v[23:24]
                                        ; implicit-def: $vgpr59
	s_and_saveexec_b64 s[18:19], vcc
	s_xor_b64 s[72:73], exec, s[18:19]
	s_cbranch_execz .LBB4_423
; %bb.410:                              ;   in Loop: Header=BB4_299 Depth=3
	v_and_b32_e32 v23, 0x7fffffff, v27
	v_mov_b32_e32 v24, v41
	v_cmp_gt_u64_e32 vcc, s[56:57], v[23:24]
	v_and_b32_sdwa v0, v27, s36 dst_sel:DWORD dst_unused:UNUSED_PAD src0_sel:BYTE_3 src1_sel:DWORD
                                        ; implicit-def: $vgpr59
	s_and_saveexec_b64 s[18:19], vcc
	s_xor_b64 s[74:75], exec, s[18:19]
	s_cbranch_execz .LBB4_420
; %bb.411:                              ;   in Loop: Header=BB4_299 Depth=3
	v_mov_b32_e32 v59, 0
	v_cmp_ne_u32_e32 vcc, 0, v27
	s_and_saveexec_b64 s[76:77], vcc
	s_cbranch_execz .LBB4_419
; %bb.412:                              ;   in Loop: Header=BB4_299 Depth=3
	v_bfe_u32 v31, v27, 23, 8
	v_cmp_gt_u32_e64 s[18:19], s38, v31
	v_sub_u32_e32 v24, 0x79, v31
	v_and_b32_e32 v23, 0x7fffff, v27
	v_cmp_eq_u32_e32 vcc, 0, v31
	v_cndmask_b32_e64 v24, 0, v24, s[18:19]
	v_or_b32_e32 v27, 0x800000, v23
	v_cndmask_b32_e32 v45, v24, v8, vcc
	v_cndmask_b32_e32 v23, v27, v23, vcc
	v_add_u32_e32 v27, 20, v45
	v_lshlrev_b64 v[27:28], v27, -1
	v_add_u32_e32 v42, 19, v45
	v_lshlrev_b64 v[42:43], v42, 1
	v_mov_b32_e32 v24, v41
	v_bfi_b32 v28, v28, 0, 0
	v_bfi_b32 v27, v27, 0, v23
	v_cmp_eq_u64_e64 s[18:19], v[27:28], v[42:43]
	v_lshrrev_b64 v[27:28], v45, v[23:24]
	v_mov_b32_e32 v43, v28
	v_mov_b32_e32 v42, v27
	s_and_saveexec_b64 s[78:79], s[18:19]
; %bb.413:                              ;   in Loop: Header=BB4_299 Depth=3
	v_bfe_u32 v23, v27, 20, 1
	v_add_co_u32_e64 v23, s[18:19], v27, v23
	v_add_co_u32_e64 v42, s[18:19], -1, v23
; %bb.414:                              ;   in Loop: Header=BB4_299 Depth=3
	s_or_b64 exec, exec, s[78:79]
	v_add_u32_e32 v23, 0xffffff81, v31
	v_cndmask_b32_e32 v23, v23, v54, vcc
	v_lshrrev_b32_e32 v24, 23, v27
	v_add3_u32 v24, v45, v23, v24
	v_add_u32_e32 v23, 6, v24
	v_and_b32_e32 v28, 0xfffff, v42
	v_add_u32_e32 v27, v28, v27
	v_mov_b32_e32 v28, v41
	v_cmp_ne_u32_e32 vcc, 0, v23
                                        ; implicit-def: $vgpr31
	s_and_saveexec_b64 s[18:19], vcc
	s_xor_b64 s[18:19], exec, s[18:19]
; %bb.415:                              ;   in Loop: Header=BB4_299 Depth=3
	v_cmp_lt_u64_e32 vcc, s[58:59], v[27:28]
	v_add_u32_e32 v24, 7, v24
	v_cndmask_b32_e32 v31, v23, v24, vcc
	v_cndmask_b32_e64 v23, 0, 1, vcc
	v_lshrrev_b64 v[27:28], v23, v[27:28]
; %bb.416:                              ;   in Loop: Header=BB4_299 Depth=3
	s_andn2_saveexec_b64 s[18:19], s[18:19]
; %bb.417:                              ;   in Loop: Header=BB4_299 Depth=3
	v_bfe_u32 v31, v27, 23, 1
; %bb.418:                              ;   in Loop: Header=BB4_299 Depth=3
	s_or_b64 exec, exec, s[18:19]
	v_lshrrev_b64 v[23:24], 20, v[27:28]
	v_cmp_gt_i32_e32 vcc, 16, v31
	v_cndmask_b32_e32 v24, 0, v24, vcc
	v_cndmask_b32_e32 v23, 7, v23, vcc
	v_cmp_eq_u64_e64 s[18:19], 0, v[23:24]
	v_min_i32_e32 v24, 15, v31
	v_lshlrev_b32_e32 v24, 3, v24
	v_cmp_eq_u32_e32 vcc, 0, v31
	v_and_b32_e32 v24, 0xf8, v24
	v_and_or_b32 v23, v23, 7, v24
	s_and_b64 s[18:19], vcc, s[18:19]
	v_cndmask_b32_e64 v23, v23, 0, s[18:19]
	v_or_b32_e32 v59, v23, v0
.LBB4_419:                              ;   in Loop: Header=BB4_299 Depth=3
	s_or_b64 exec, exec, s[76:77]
                                        ; implicit-def: $vgpr0
.LBB4_420:                              ;   in Loop: Header=BB4_299 Depth=3
	s_andn2_saveexec_b64 s[18:19], s[74:75]
; %bb.421:                              ;   in Loop: Header=BB4_299 Depth=3
	v_or_b32_e32 v59, 0x7e, v0
; %bb.422:                              ;   in Loop: Header=BB4_299 Depth=3
	s_or_b64 exec, exec, s[18:19]
                                        ; implicit-def: $vgpr27
.LBB4_423:                              ;   in Loop: Header=BB4_299 Depth=3
	s_andn2_saveexec_b64 s[18:19], s[72:73]
; %bb.424:                              ;   in Loop: Header=BB4_299 Depth=3
	v_or_b32_sdwa v59, v27, s37 dst_sel:DWORD dst_unused:UNUSED_PAD src0_sel:BYTE_3 src1_sel:DWORD
; %bb.425:                              ;   in Loop: Header=BB4_299 Depth=3
	s_or_b64 exec, exec, s[18:19]
	v_lshrrev_b16_e32 v0, 8, v40
	v_cmp_ne_u16_e32 vcc, 0, v0
	v_mov_b32_e32 v23, 0
	s_and_saveexec_b64 s[18:19], vcc
	s_cbranch_execz .LBB4_431
; %bb.426:                              ;   in Loop: Header=BB4_299 Depth=3
	v_cmp_ne_u16_e32 vcc, s36, v0
	v_bfrev_b32_e32 v23, 1
	s_and_saveexec_b64 s[72:73], vcc
	s_cbranch_execz .LBB4_430
; %bb.427:                              ;   in Loop: Header=BB4_299 Depth=3
	v_and_b32_e32 v24, 0x7f, v0
	v_cmp_ne_u32_e32 vcc, s37, v24
	v_mov_b32_e32 v23, 0x7f800001
	s_and_saveexec_b64 s[74:75], vcc
	s_cbranch_execz .LBB4_429
; %bb.428:                              ;   in Loop: Header=BB4_299 Depth=3
	v_and_b32_e32 v27, 7, v0
	v_ffbh_u32_e32 v23, v27
	v_min_u32_e32 v31, 32, v23
	v_subrev_u32_e32 v23, 28, v31
	v_lshrrev_b32_e32 v28, 3, v24
	v_cmp_gt_u32_e32 vcc, 8, v24
	v_lshlrev_b64 v[23:24], v23, v[0:1]
	v_sub_u32_e32 v0, 29, v31
	v_and_b32_e32 v23, 7, v23
	v_cndmask_b32_e32 v0, v28, v0, vcc
	v_cndmask_b32_e32 v23, v27, v23, vcc
	v_lshlrev_b32_e32 v24, 16, v40
	v_lshlrev_b32_e32 v23, 20, v23
	v_and_b32_e32 v24, 0x80000000, v24
	v_lshl_add_u32 v0, v0, 23, v7
	v_or3_b32 v23, v24, v0, v23
.LBB4_429:                              ;   in Loop: Header=BB4_299 Depth=3
	s_or_b64 exec, exec, s[74:75]
.LBB4_430:                              ;   in Loop: Header=BB4_299 Depth=3
	s_or_b64 exec, exec, s[72:73]
.LBB4_431:                              ;   in Loop: Header=BB4_299 Depth=3
	s_or_b64 exec, exec, s[18:19]
	v_mul_f32_e32 v27, v62, v23
	v_and_b32_e32 v23, 0x7f800000, v27
	v_mov_b32_e32 v24, v41
	v_cmp_ne_u64_e32 vcc, s[46:47], v[23:24]
                                        ; implicit-def: $vgpr45
	s_and_saveexec_b64 s[18:19], vcc
	s_xor_b64 s[72:73], exec, s[18:19]
	s_cbranch_execz .LBB4_445
; %bb.432:                              ;   in Loop: Header=BB4_299 Depth=3
	v_and_b32_e32 v23, 0x7fffffff, v27
	v_mov_b32_e32 v24, v41
	v_cmp_gt_u64_e32 vcc, s[56:57], v[23:24]
	v_and_b32_sdwa v0, v27, s36 dst_sel:DWORD dst_unused:UNUSED_PAD src0_sel:BYTE_3 src1_sel:DWORD
                                        ; implicit-def: $vgpr45
	s_and_saveexec_b64 s[18:19], vcc
	s_xor_b64 s[74:75], exec, s[18:19]
	s_cbranch_execz .LBB4_442
; %bb.433:                              ;   in Loop: Header=BB4_299 Depth=3
	v_mov_b32_e32 v45, 0
	v_cmp_ne_u32_e32 vcc, 0, v27
	s_and_saveexec_b64 s[76:77], vcc
	s_cbranch_execz .LBB4_441
; %bb.434:                              ;   in Loop: Header=BB4_299 Depth=3
	v_bfe_u32 v31, v27, 23, 8
	v_cmp_gt_u32_e64 s[18:19], s38, v31
	v_sub_u32_e32 v24, 0x79, v31
	v_and_b32_e32 v23, 0x7fffff, v27
	v_cmp_eq_u32_e32 vcc, 0, v31
	v_cndmask_b32_e64 v24, 0, v24, s[18:19]
	v_or_b32_e32 v27, 0x800000, v23
	v_cndmask_b32_e32 v45, v24, v8, vcc
	v_cndmask_b32_e32 v23, v27, v23, vcc
	v_add_u32_e32 v27, 20, v45
	v_lshlrev_b64 v[27:28], v27, -1
	v_add_u32_e32 v42, 19, v45
	v_lshlrev_b64 v[42:43], v42, 1
	v_mov_b32_e32 v24, v41
	v_bfi_b32 v28, v28, 0, 0
	v_bfi_b32 v27, v27, 0, v23
	v_cmp_eq_u64_e64 s[18:19], v[27:28], v[42:43]
	v_lshrrev_b64 v[27:28], v45, v[23:24]
	v_mov_b32_e32 v43, v28
	v_mov_b32_e32 v42, v27
	s_and_saveexec_b64 s[78:79], s[18:19]
; %bb.435:                              ;   in Loop: Header=BB4_299 Depth=3
	v_bfe_u32 v23, v27, 20, 1
	v_add_co_u32_e64 v23, s[18:19], v27, v23
	v_add_co_u32_e64 v42, s[18:19], -1, v23
; %bb.436:                              ;   in Loop: Header=BB4_299 Depth=3
	s_or_b64 exec, exec, s[78:79]
	v_add_u32_e32 v23, 0xffffff81, v31
	v_cndmask_b32_e32 v23, v23, v54, vcc
	v_lshrrev_b32_e32 v24, 23, v27
	v_add3_u32 v24, v45, v23, v24
	v_add_u32_e32 v23, 6, v24
	v_and_b32_e32 v28, 0xfffff, v42
	v_add_u32_e32 v27, v28, v27
	v_mov_b32_e32 v28, v41
	v_cmp_ne_u32_e32 vcc, 0, v23
                                        ; implicit-def: $vgpr31
	s_and_saveexec_b64 s[18:19], vcc
	s_xor_b64 s[18:19], exec, s[18:19]
; %bb.437:                              ;   in Loop: Header=BB4_299 Depth=3
	v_cmp_lt_u64_e32 vcc, s[58:59], v[27:28]
	v_add_u32_e32 v24, 7, v24
	v_cndmask_b32_e32 v31, v23, v24, vcc
	v_cndmask_b32_e64 v23, 0, 1, vcc
	v_lshrrev_b64 v[27:28], v23, v[27:28]
; %bb.438:                              ;   in Loop: Header=BB4_299 Depth=3
	s_andn2_saveexec_b64 s[18:19], s[18:19]
; %bb.439:                              ;   in Loop: Header=BB4_299 Depth=3
	v_bfe_u32 v31, v27, 23, 1
; %bb.440:                              ;   in Loop: Header=BB4_299 Depth=3
	s_or_b64 exec, exec, s[18:19]
	v_lshrrev_b64 v[23:24], 20, v[27:28]
	v_cmp_gt_i32_e32 vcc, 16, v31
	v_cndmask_b32_e32 v24, 0, v24, vcc
	v_cndmask_b32_e32 v23, 7, v23, vcc
	v_cmp_eq_u64_e64 s[18:19], 0, v[23:24]
	v_min_i32_e32 v24, 15, v31
	v_lshlrev_b32_e32 v24, 3, v24
	v_cmp_eq_u32_e32 vcc, 0, v31
	v_and_b32_e32 v24, 0xf8, v24
	v_and_or_b32 v23, v23, 7, v24
	s_and_b64 s[18:19], vcc, s[18:19]
	v_cndmask_b32_e64 v23, v23, 0, s[18:19]
	v_or_b32_e32 v45, v23, v0
.LBB4_441:                              ;   in Loop: Header=BB4_299 Depth=3
	s_or_b64 exec, exec, s[76:77]
                                        ; implicit-def: $vgpr0
.LBB4_442:                              ;   in Loop: Header=BB4_299 Depth=3
	s_andn2_saveexec_b64 s[18:19], s[74:75]
; %bb.443:                              ;   in Loop: Header=BB4_299 Depth=3
	v_or_b32_e32 v45, 0x7e, v0
; %bb.444:                              ;   in Loop: Header=BB4_299 Depth=3
	s_or_b64 exec, exec, s[18:19]
                                        ; implicit-def: $vgpr27
.LBB4_445:                              ;   in Loop: Header=BB4_299 Depth=3
	s_andn2_saveexec_b64 s[18:19], s[72:73]
; %bb.446:                              ;   in Loop: Header=BB4_299 Depth=3
	v_or_b32_sdwa v45, v27, s37 dst_sel:DWORD dst_unused:UNUSED_PAD src0_sel:BYTE_3 src1_sel:DWORD
; %bb.447:                              ;   in Loop: Header=BB4_299 Depth=3
	s_or_b64 exec, exec, s[18:19]
	v_and_b32_sdwa v24, v40, s35 dst_sel:DWORD dst_unused:UNUSED_PAD src0_sel:WORD_1 src1_sel:DWORD
	v_lshrrev_b32_e32 v0, 16, v40
	v_cmp_ne_u16_e32 vcc, 0, v24
	v_mov_b32_e32 v23, 0
	s_and_saveexec_b64 s[18:19], vcc
	s_cbranch_execz .LBB4_453
; %bb.448:                              ;   in Loop: Header=BB4_299 Depth=3
	v_cmp_ne_u16_e32 vcc, s36, v24
	v_bfrev_b32_e32 v23, 1
	s_and_saveexec_b64 s[72:73], vcc
	s_cbranch_execz .LBB4_452
; %bb.449:                              ;   in Loop: Header=BB4_299 Depth=3
	v_bfe_u32 v24, v40, 16, 7
	v_cmp_ne_u32_e32 vcc, s37, v24
	v_mov_b32_e32 v23, 0x7f800001
	s_and_saveexec_b64 s[74:75], vcc
	s_cbranch_execz .LBB4_451
; %bb.450:                              ;   in Loop: Header=BB4_299 Depth=3
	v_and_b32_e32 v27, 7, v0
	v_ffbh_u32_e32 v23, v27
	v_min_u32_e32 v31, 32, v23
	v_subrev_u32_e32 v23, 28, v31
	v_lshrrev_b32_e32 v28, 3, v24
	v_cmp_gt_u32_e32 vcc, 8, v24
	v_lshlrev_b64 v[23:24], v23, v[0:1]
	v_sub_u32_e32 v0, 29, v31
	v_and_b32_e32 v23, 7, v23
	v_cndmask_b32_e32 v0, v28, v0, vcc
	v_cndmask_b32_e32 v23, v27, v23, vcc
	v_lshlrev_b32_sdwa v24, v55, v40 dst_sel:DWORD dst_unused:UNUSED_PAD src0_sel:DWORD src1_sel:WORD_1
	v_lshlrev_b32_e32 v23, 20, v23
	v_and_b32_e32 v24, 0x80000000, v24
	v_lshl_add_u32 v0, v0, 23, v7
	v_or3_b32 v23, v24, v0, v23
.LBB4_451:                              ;   in Loop: Header=BB4_299 Depth=3
	s_or_b64 exec, exec, s[74:75]
.LBB4_452:                              ;   in Loop: Header=BB4_299 Depth=3
	s_or_b64 exec, exec, s[72:73]
.LBB4_453:                              ;   in Loop: Header=BB4_299 Depth=3
	s_or_b64 exec, exec, s[18:19]
	v_mul_f32_e32 v27, v62, v23
	v_and_b32_e32 v23, 0x7f800000, v27
	v_mov_b32_e32 v24, v41
	v_cmp_ne_u64_e32 vcc, s[46:47], v[23:24]
                                        ; implicit-def: $vgpr31
	s_and_saveexec_b64 s[18:19], vcc
	s_xor_b64 s[72:73], exec, s[18:19]
	s_cbranch_execz .LBB4_467
; %bb.454:                              ;   in Loop: Header=BB4_299 Depth=3
	v_and_b32_e32 v23, 0x7fffffff, v27
	v_mov_b32_e32 v24, v41
	v_cmp_gt_u64_e32 vcc, s[56:57], v[23:24]
	v_and_b32_sdwa v0, v27, s36 dst_sel:DWORD dst_unused:UNUSED_PAD src0_sel:BYTE_3 src1_sel:DWORD
                                        ; implicit-def: $vgpr31
	s_and_saveexec_b64 s[18:19], vcc
	s_xor_b64 s[74:75], exec, s[18:19]
	s_cbranch_execz .LBB4_464
; %bb.455:                              ;   in Loop: Header=BB4_299 Depth=3
	v_mov_b32_e32 v31, 0
	v_cmp_ne_u32_e32 vcc, 0, v27
	s_and_saveexec_b64 s[76:77], vcc
	s_cbranch_execz .LBB4_463
; %bb.456:                              ;   in Loop: Header=BB4_299 Depth=3
	v_bfe_u32 v31, v27, 23, 8
	v_cmp_gt_u32_e64 s[18:19], s38, v31
	v_sub_u32_e32 v24, 0x79, v31
	v_and_b32_e32 v23, 0x7fffff, v27
	v_cmp_eq_u32_e32 vcc, 0, v31
	v_cndmask_b32_e64 v24, 0, v24, s[18:19]
	v_or_b32_e32 v27, 0x800000, v23
	v_cndmask_b32_e32 v57, v24, v8, vcc
	v_cndmask_b32_e32 v23, v27, v23, vcc
	v_add_u32_e32 v27, 20, v57
	v_lshlrev_b64 v[27:28], v27, -1
	v_add_u32_e32 v42, 19, v57
	v_lshlrev_b64 v[42:43], v42, 1
	v_mov_b32_e32 v24, v41
	v_bfi_b32 v28, v28, 0, 0
	v_bfi_b32 v27, v27, 0, v23
	v_cmp_eq_u64_e64 s[18:19], v[27:28], v[42:43]
	v_lshrrev_b64 v[27:28], v57, v[23:24]
	v_mov_b32_e32 v43, v28
	v_mov_b32_e32 v42, v27
	s_and_saveexec_b64 s[78:79], s[18:19]
; %bb.457:                              ;   in Loop: Header=BB4_299 Depth=3
	v_bfe_u32 v23, v27, 20, 1
	v_add_co_u32_e64 v23, s[18:19], v27, v23
	v_add_co_u32_e64 v42, s[18:19], -1, v23
; %bb.458:                              ;   in Loop: Header=BB4_299 Depth=3
	s_or_b64 exec, exec, s[78:79]
	v_add_u32_e32 v23, 0xffffff81, v31
	v_cndmask_b32_e32 v23, v23, v54, vcc
	v_lshrrev_b32_e32 v24, 23, v27
	v_add3_u32 v24, v57, v23, v24
	v_add_u32_e32 v23, 6, v24
	v_and_b32_e32 v28, 0xfffff, v42
	v_add_u32_e32 v27, v28, v27
	v_mov_b32_e32 v28, v41
	v_cmp_ne_u32_e32 vcc, 0, v23
                                        ; implicit-def: $vgpr31
	s_and_saveexec_b64 s[18:19], vcc
	s_xor_b64 s[18:19], exec, s[18:19]
; %bb.459:                              ;   in Loop: Header=BB4_299 Depth=3
	v_cmp_lt_u64_e32 vcc, s[58:59], v[27:28]
	v_add_u32_e32 v24, 7, v24
	v_cndmask_b32_e32 v31, v23, v24, vcc
	v_cndmask_b32_e64 v23, 0, 1, vcc
	v_lshrrev_b64 v[27:28], v23, v[27:28]
; %bb.460:                              ;   in Loop: Header=BB4_299 Depth=3
	s_andn2_saveexec_b64 s[18:19], s[18:19]
; %bb.461:                              ;   in Loop: Header=BB4_299 Depth=3
	v_bfe_u32 v31, v27, 23, 1
; %bb.462:                              ;   in Loop: Header=BB4_299 Depth=3
	s_or_b64 exec, exec, s[18:19]
	v_lshrrev_b64 v[23:24], 20, v[27:28]
	v_cmp_gt_i32_e32 vcc, 16, v31
	v_cndmask_b32_e32 v24, 0, v24, vcc
	v_cndmask_b32_e32 v23, 7, v23, vcc
	v_cmp_eq_u64_e64 s[18:19], 0, v[23:24]
	v_min_i32_e32 v24, 15, v31
	v_lshlrev_b32_e32 v24, 3, v24
	v_cmp_eq_u32_e32 vcc, 0, v31
	v_and_b32_e32 v24, 0xf8, v24
	v_and_or_b32 v23, v23, 7, v24
	s_and_b64 s[18:19], vcc, s[18:19]
	v_cndmask_b32_e64 v23, v23, 0, s[18:19]
	v_or_b32_e32 v31, v23, v0
.LBB4_463:                              ;   in Loop: Header=BB4_299 Depth=3
	s_or_b64 exec, exec, s[76:77]
                                        ; implicit-def: $vgpr0
.LBB4_464:                              ;   in Loop: Header=BB4_299 Depth=3
	s_andn2_saveexec_b64 s[18:19], s[74:75]
; %bb.465:                              ;   in Loop: Header=BB4_299 Depth=3
	v_or_b32_e32 v31, 0x7e, v0
; %bb.466:                              ;   in Loop: Header=BB4_299 Depth=3
	s_or_b64 exec, exec, s[18:19]
                                        ; implicit-def: $vgpr27
.LBB4_467:                              ;   in Loop: Header=BB4_299 Depth=3
	s_andn2_saveexec_b64 s[18:19], s[72:73]
; %bb.468:                              ;   in Loop: Header=BB4_299 Depth=3
	v_or_b32_sdwa v31, v27, s37 dst_sel:DWORD dst_unused:UNUSED_PAD src0_sel:BYTE_3 src1_sel:DWORD
; %bb.469:                              ;   in Loop: Header=BB4_299 Depth=3
	s_or_b64 exec, exec, s[18:19]
	v_cmp_lt_u32_e32 vcc, s39, v40
	v_mov_b32_e32 v23, 0
	s_and_saveexec_b64 s[18:19], vcc
	s_cbranch_execz .LBB4_475
; %bb.470:                              ;   in Loop: Header=BB4_299 Depth=3
	v_lshrrev_b32_e32 v0, 24, v40
	v_cmp_ne_u32_sdwa s[74:75], v40, s36 src0_sel:BYTE_3 src1_sel:DWORD
	v_bfrev_b32_e32 v23, 1
	s_and_saveexec_b64 s[72:73], s[74:75]
	s_cbranch_execz .LBB4_474
; %bb.471:                              ;   in Loop: Header=BB4_299 Depth=3
	v_bfe_u32 v24, v40, 24, 7
	v_cmp_ne_u32_e32 vcc, s37, v24
	v_mov_b32_e32 v23, 0x7f800001
	s_and_saveexec_b64 s[74:75], vcc
	s_cbranch_execz .LBB4_473
; %bb.472:                              ;   in Loop: Header=BB4_299 Depth=3
	v_and_b32_e32 v27, 7, v0
	v_ffbh_u32_e32 v23, v27
	v_min_u32_e32 v42, 32, v23
	v_subrev_u32_e32 v23, 28, v42
	v_lshrrev_b32_e32 v28, 3, v24
	v_cmp_gt_u32_e32 vcc, 8, v24
	v_lshlrev_b64 v[23:24], v23, v[0:1]
	v_sub_u32_e32 v0, 29, v42
	v_and_b32_e32 v23, 7, v23
	v_cndmask_b32_e32 v0, v28, v0, vcc
	v_cndmask_b32_e32 v23, v27, v23, vcc
	v_lshlrev_b32_sdwa v24, v55, v40 dst_sel:DWORD dst_unused:UNUSED_PAD src0_sel:DWORD src1_sel:BYTE_3
	v_lshlrev_b32_e32 v23, 20, v23
	v_and_b32_e32 v24, 0x80000000, v24
	v_lshl_add_u32 v0, v0, 23, v7
	v_or3_b32 v23, v24, v0, v23
.LBB4_473:                              ;   in Loop: Header=BB4_299 Depth=3
	s_or_b64 exec, exec, s[74:75]
.LBB4_474:                              ;   in Loop: Header=BB4_299 Depth=3
	s_or_b64 exec, exec, s[72:73]
.LBB4_475:                              ;   in Loop: Header=BB4_299 Depth=3
	s_or_b64 exec, exec, s[18:19]
	v_mul_f32_e32 v27, v62, v23
	v_and_b32_e32 v40, 0x7f800000, v27
	v_cmp_ne_u64_e32 vcc, s[46:47], v[40:41]
                                        ; implicit-def: $vgpr57
	s_and_saveexec_b64 s[18:19], vcc
	s_xor_b64 s[72:73], exec, s[18:19]
	s_cbranch_execz .LBB4_489
; %bb.476:                              ;   in Loop: Header=BB4_299 Depth=3
	v_and_b32_e32 v40, 0x7fffffff, v27
	v_cmp_gt_u64_e32 vcc, s[56:57], v[40:41]
	v_and_b32_sdwa v0, v27, s36 dst_sel:DWORD dst_unused:UNUSED_PAD src0_sel:BYTE_3 src1_sel:DWORD
                                        ; implicit-def: $vgpr57
	s_and_saveexec_b64 s[18:19], vcc
	s_xor_b64 s[74:75], exec, s[18:19]
	s_cbranch_execz .LBB4_486
; %bb.477:                              ;   in Loop: Header=BB4_299 Depth=3
	v_mov_b32_e32 v57, 0
	v_cmp_ne_u32_e32 vcc, 0, v27
	s_and_saveexec_b64 s[76:77], vcc
	s_cbranch_execz .LBB4_485
; %bb.478:                              ;   in Loop: Header=BB4_299 Depth=3
	v_bfe_u32 v57, v27, 23, 8
	v_cmp_gt_u32_e64 s[18:19], s38, v57
	v_sub_u32_e32 v23, 0x79, v57
	v_and_b32_e32 v24, 0x7fffff, v27
	v_cmp_eq_u32_e32 vcc, 0, v57
	v_cndmask_b32_e64 v23, 0, v23, s[18:19]
	v_or_b32_e32 v27, 0x800000, v24
	v_cndmask_b32_e32 v23, v23, v8, vcc
	v_cndmask_b32_e32 v40, v27, v24, vcc
	v_add_u32_e32 v24, 20, v23
	v_lshlrev_b64 v[27:28], v24, -1
	v_add_u32_e32 v24, 19, v23
	v_lshlrev_b64 v[42:43], v24, 1
	v_bfi_b32 v28, v28, 0, 0
	v_bfi_b32 v27, v27, 0, v40
	v_cmp_eq_u64_e64 s[18:19], v[27:28], v[42:43]
	v_lshrrev_b64 v[27:28], v23, v[40:41]
	v_mov_b32_e32 v43, v28
	v_mov_b32_e32 v42, v27
	s_and_saveexec_b64 s[78:79], s[18:19]
; %bb.479:                              ;   in Loop: Header=BB4_299 Depth=3
	v_bfe_u32 v24, v27, 20, 1
	v_add_co_u32_e64 v24, s[18:19], v27, v24
	v_add_co_u32_e64 v42, s[18:19], -1, v24
; %bb.480:                              ;   in Loop: Header=BB4_299 Depth=3
	s_or_b64 exec, exec, s[78:79]
	v_add_u32_e32 v24, 0xffffff81, v57
	v_cndmask_b32_e32 v24, v24, v54, vcc
	v_lshrrev_b32_e32 v28, 23, v27
	v_add3_u32 v24, v23, v24, v28
	v_add_u32_e32 v23, 6, v24
	v_and_b32_e32 v28, 0xfffff, v42
	v_add_u32_e32 v40, v28, v27
	v_cmp_ne_u32_e32 vcc, 0, v23
                                        ; implicit-def: $vgpr27_vgpr28
                                        ; implicit-def: $vgpr42
	s_and_saveexec_b64 s[18:19], vcc
	s_xor_b64 s[18:19], exec, s[18:19]
; %bb.481:                              ;   in Loop: Header=BB4_299 Depth=3
	v_cmp_lt_u64_e32 vcc, s[58:59], v[40:41]
	v_add_u32_e32 v24, 7, v24
	v_cndmask_b32_e32 v42, v23, v24, vcc
	v_cndmask_b32_e64 v23, 0, 1, vcc
	v_lshrrev_b64 v[27:28], v23, v[40:41]
; %bb.482:                              ;   in Loop: Header=BB4_299 Depth=3
	s_andn2_saveexec_b64 s[18:19], s[18:19]
; %bb.483:                              ;   in Loop: Header=BB4_299 Depth=3
	v_mov_b32_e32 v27, v40
	v_bfe_u32 v42, v40, 23, 1
	v_mov_b32_e32 v28, v41
; %bb.484:                              ;   in Loop: Header=BB4_299 Depth=3
	s_or_b64 exec, exec, s[18:19]
	v_lshrrev_b64 v[23:24], 20, v[27:28]
	v_cmp_gt_i32_e32 vcc, 16, v42
	v_cndmask_b32_e32 v24, 0, v24, vcc
	v_cndmask_b32_e32 v23, 7, v23, vcc
	v_cmp_eq_u64_e64 s[18:19], 0, v[23:24]
	v_min_i32_e32 v24, 15, v42
	v_lshlrev_b32_e32 v24, 3, v24
	v_cmp_eq_u32_e32 vcc, 0, v42
	v_and_b32_e32 v24, 0xf8, v24
	v_and_or_b32 v23, v23, 7, v24
	s_and_b64 s[18:19], vcc, s[18:19]
	v_cndmask_b32_e64 v23, v23, 0, s[18:19]
	v_or_b32_e32 v57, v23, v0
.LBB4_485:                              ;   in Loop: Header=BB4_299 Depth=3
	s_or_b64 exec, exec, s[76:77]
                                        ; implicit-def: $vgpr0
.LBB4_486:                              ;   in Loop: Header=BB4_299 Depth=3
	s_andn2_saveexec_b64 s[18:19], s[74:75]
; %bb.487:                              ;   in Loop: Header=BB4_299 Depth=3
	v_or_b32_e32 v57, 0x7e, v0
; %bb.488:                              ;   in Loop: Header=BB4_299 Depth=3
	s_or_b64 exec, exec, s[18:19]
                                        ; implicit-def: $vgpr27
.LBB4_489:                              ;   in Loop: Header=BB4_299 Depth=3
	s_andn2_saveexec_b64 s[18:19], s[72:73]
; %bb.490:                              ;   in Loop: Header=BB4_299 Depth=3
	v_or_b32_sdwa v57, v27, s37 dst_sel:DWORD dst_unused:UNUSED_PAD src0_sel:BYTE_3 src1_sel:DWORD
; %bb.491:                              ;   in Loop: Header=BB4_299 Depth=3
	s_or_b64 exec, exec, s[18:19]
	s_waitcnt vmcnt(0)
	v_cmp_ne_u16_sdwa s[72:73], v19, v41 src0_sel:BYTE_0 src1_sel:DWORD
	v_mov_b32_e32 v0, 0
	v_mov_b32_e32 v27, 0
	s_and_saveexec_b64 s[18:19], s[72:73]
	s_cbranch_execz .LBB4_497
; %bb.492:                              ;   in Loop: Header=BB4_299 Depth=3
	v_cmp_ne_u16_sdwa s[74:75], v19, s36 src0_sel:BYTE_0 src1_sel:DWORD
	v_bfrev_b32_e32 v27, 1
	s_and_saveexec_b64 s[72:73], s[74:75]
	s_cbranch_execz .LBB4_496
; %bb.493:                              ;   in Loop: Header=BB4_299 Depth=3
	v_and_b32_e32 v23, 0x7f, v19
	v_cmp_ne_u32_e32 vcc, s37, v23
	v_mov_b32_e32 v27, 0x7f800001
	s_and_saveexec_b64 s[74:75], vcc
	s_cbranch_execz .LBB4_495
; %bb.494:                              ;   in Loop: Header=BB4_299 Depth=3
	v_and_b32_e32 v24, 7, v19
	v_lshrrev_b32_e32 v27, 3, v23
	v_cmp_gt_u32_e32 vcc, 8, v23
	v_ffbh_u32_e32 v23, v24
	v_min_u32_e32 v23, 32, v23
	v_subrev_u32_e32 v24, 28, v23
	v_sub_u32_e32 v23, 29, v23
	v_cndmask_b32_e32 v27, v27, v23, vcc
	v_cndmask_b32_e32 v23, 0, v24, vcc
	v_lshlrev_b64 v[23:24], v23, v[19:20]
	v_lshl_add_u32 v24, v27, 23, v7
	v_lshlrev_b32_e32 v20, 20, v23
	v_lshlrev_b32_e32 v23, 24, v19
	v_and_b32_e32 v20, 0x700000, v20
	v_and_b32_e32 v23, 0x80000000, v23
	v_or3_b32 v27, v23, v24, v20
.LBB4_495:                              ;   in Loop: Header=BB4_299 Depth=3
	s_or_b64 exec, exec, s[74:75]
.LBB4_496:                              ;   in Loop: Header=BB4_299 Depth=3
	s_or_b64 exec, exec, s[72:73]
.LBB4_497:                              ;   in Loop: Header=BB4_299 Depth=3
	s_or_b64 exec, exec, s[18:19]
	v_lshl_or_b32 v20, v44, 8, v17
	v_lshlrev_b32_e32 v23, 16, v56
	v_lshlrev_b32_e32 v4, 24, v4
	v_or3_b32 v40, v23, v4, v20
	v_cmp_ne_u32_e32 vcc, 0, v17
	s_and_saveexec_b64 s[18:19], vcc
	s_cbranch_execz .LBB4_503
; %bb.498:                              ;   in Loop: Header=BB4_299 Depth=3
	v_cmp_ne_u32_e32 vcc, s36, v17
	v_bfrev_b32_e32 v0, 1
	s_and_saveexec_b64 s[72:73], vcc
	s_cbranch_execz .LBB4_502
; %bb.499:                              ;   in Loop: Header=BB4_299 Depth=3
	v_and_b32_e32 v4, 0x7f, v17
	v_cmp_ne_u32_e32 vcc, s37, v4
	v_mov_b32_e32 v0, 0x7f800001
	s_and_saveexec_b64 s[74:75], vcc
	s_cbranch_execz .LBB4_501
; %bb.500:                              ;   in Loop: Header=BB4_299 Depth=3
	v_and_b32_e32 v0, 7, v17
	v_ffbh_u32_e32 v0, v0
	v_min_u32_e32 v0, 32, v0
	v_lshrrev_b32_e32 v17, 3, v4
	v_cmp_gt_u32_e32 vcc, 8, v4
	v_subrev_u32_e32 v4, 28, v0
	v_cndmask_b32_e32 v4, 0, v4, vcc
	v_lshlrev_b64 v[23:24], v4, v[40:41]
	v_sub_u32_e32 v0, 29, v0
	v_cndmask_b32_e32 v0, v17, v0, vcc
	v_lshlrev_b32_e32 v4, 20, v23
	v_lshlrev_b32_e32 v17, 24, v40
	v_and_b32_e32 v4, 0x700000, v4
	v_and_b32_e32 v17, 0x80000000, v17
	v_lshl_add_u32 v0, v0, 23, v7
	v_or3_b32 v0, v17, v0, v4
.LBB4_501:                              ;   in Loop: Header=BB4_299 Depth=3
	s_or_b64 exec, exec, s[74:75]
.LBB4_502:                              ;   in Loop: Header=BB4_299 Depth=3
	s_or_b64 exec, exec, s[72:73]
.LBB4_503:                              ;   in Loop: Header=BB4_299 Depth=3
	s_or_b64 exec, exec, s[18:19]
	v_add_f32_e32 v4, v27, v0
	v_and_b32_e32 v23, 0x7f800000, v4
	v_mov_b32_e32 v24, v41
	v_cmp_ne_u64_e32 vcc, s[46:47], v[23:24]
                                        ; implicit-def: $vgpr17
	s_and_saveexec_b64 s[18:19], vcc
	s_xor_b64 s[72:73], exec, s[18:19]
	s_cbranch_execz .LBB4_517
; %bb.504:                              ;   in Loop: Header=BB4_299 Depth=3
	v_and_b32_e32 v23, 0x7fffffff, v4
	v_mov_b32_e32 v24, v41
	v_cmp_gt_u64_e32 vcc, s[56:57], v[23:24]
	v_and_b32_sdwa v0, v4, s36 dst_sel:DWORD dst_unused:UNUSED_PAD src0_sel:BYTE_3 src1_sel:DWORD
                                        ; implicit-def: $vgpr17
	s_and_saveexec_b64 s[18:19], vcc
	s_xor_b64 s[74:75], exec, s[18:19]
	s_cbranch_execz .LBB4_514
; %bb.505:                              ;   in Loop: Header=BB4_299 Depth=3
	v_mov_b32_e32 v17, 0
	v_cmp_ne_u32_e32 vcc, 0, v4
	s_and_saveexec_b64 s[76:77], vcc
	s_cbranch_execz .LBB4_513
; %bb.506:                              ;   in Loop: Header=BB4_299 Depth=3
	v_and_b32_e32 v23, 0x7fffff, v4
	v_bfe_u32 v4, v4, 23, 8
	v_cmp_gt_u32_e64 s[18:19], s38, v4
	v_sub_u32_e32 v17, 0x79, v4
	v_cmp_eq_u32_e32 vcc, 0, v4
	v_cndmask_b32_e64 v17, 0, v17, s[18:19]
	v_cndmask_b32_e32 v17, v17, v8, vcc
	v_add_u32_e32 v27, 20, v17
	v_or_b32_e32 v24, 0x800000, v23
	v_lshlrev_b64 v[27:28], v27, -1
	v_add_u32_e32 v42, 19, v17
	v_cndmask_b32_e32 v23, v24, v23, vcc
	v_lshlrev_b64 v[42:43], v42, 1
	v_mov_b32_e32 v24, v41
	v_bfi_b32 v28, v28, 0, 0
	v_bfi_b32 v27, v27, 0, v23
	v_cmp_eq_u64_e64 s[18:19], v[27:28], v[42:43]
	v_lshrrev_b64 v[27:28], v17, v[23:24]
	v_mov_b32_e32 v43, v28
	v_mov_b32_e32 v42, v27
	s_and_saveexec_b64 s[78:79], s[18:19]
; %bb.507:                              ;   in Loop: Header=BB4_299 Depth=3
	v_bfe_u32 v23, v27, 20, 1
	v_add_co_u32_e64 v23, s[18:19], v27, v23
	v_add_co_u32_e64 v42, s[18:19], -1, v23
; %bb.508:                              ;   in Loop: Header=BB4_299 Depth=3
	s_or_b64 exec, exec, s[78:79]
	v_add_u32_e32 v4, 0xffffff81, v4
	v_cndmask_b32_e32 v4, v4, v54, vcc
	v_lshrrev_b32_e32 v23, 23, v27
	v_add3_u32 v23, v17, v4, v23
	v_add_u32_e32 v17, 6, v23
	v_and_b32_e32 v4, 0xfffff, v42
	v_add_u32_e32 v27, v4, v27
	v_mov_b32_e32 v28, v41
	v_cmp_ne_u32_e32 vcc, 0, v17
                                        ; implicit-def: $vgpr4
	s_and_saveexec_b64 s[18:19], vcc
	s_xor_b64 s[18:19], exec, s[18:19]
; %bb.509:                              ;   in Loop: Header=BB4_299 Depth=3
	v_cmp_lt_u64_e32 vcc, s[58:59], v[27:28]
	v_add_u32_e32 v4, 7, v23
	v_cndmask_b32_e32 v4, v17, v4, vcc
	v_cndmask_b32_e64 v17, 0, 1, vcc
	v_lshrrev_b64 v[27:28], v17, v[27:28]
; %bb.510:                              ;   in Loop: Header=BB4_299 Depth=3
	s_andn2_saveexec_b64 s[18:19], s[18:19]
; %bb.511:                              ;   in Loop: Header=BB4_299 Depth=3
	v_bfe_u32 v4, v27, 23, 1
; %bb.512:                              ;   in Loop: Header=BB4_299 Depth=3
	s_or_b64 exec, exec, s[18:19]
	v_lshrrev_b64 v[23:24], 20, v[27:28]
	v_cmp_gt_i32_e32 vcc, 16, v4
	v_cndmask_b32_e32 v24, 0, v24, vcc
	v_cndmask_b32_e32 v23, 7, v23, vcc
	v_cmp_eq_u32_e32 vcc, 0, v4
	v_min_i32_e32 v4, 15, v4
	v_cmp_eq_u64_e64 s[18:19], 0, v[23:24]
	v_lshlrev_b32_e32 v4, 3, v4
	v_and_b32_e32 v4, 0xf8, v4
	v_and_or_b32 v4, v23, 7, v4
	s_and_b64 s[18:19], vcc, s[18:19]
	v_cndmask_b32_e64 v4, v4, 0, s[18:19]
	v_or_b32_e32 v17, v4, v0
.LBB4_513:                              ;   in Loop: Header=BB4_299 Depth=3
	s_or_b64 exec, exec, s[76:77]
                                        ; implicit-def: $vgpr0
.LBB4_514:                              ;   in Loop: Header=BB4_299 Depth=3
	s_andn2_saveexec_b64 s[18:19], s[74:75]
; %bb.515:                              ;   in Loop: Header=BB4_299 Depth=3
	v_or_b32_e32 v17, 0x7e, v0
; %bb.516:                              ;   in Loop: Header=BB4_299 Depth=3
	s_or_b64 exec, exec, s[18:19]
                                        ; implicit-def: $vgpr4
.LBB4_517:                              ;   in Loop: Header=BB4_299 Depth=3
	s_andn2_saveexec_b64 s[18:19], s[72:73]
; %bb.518:                              ;   in Loop: Header=BB4_299 Depth=3
	v_or_b32_sdwa v17, v4, s37 dst_sel:DWORD dst_unused:UNUSED_PAD src0_sel:BYTE_3 src1_sel:DWORD
; %bb.519:                              ;   in Loop: Header=BB4_299 Depth=3
	s_or_b64 exec, exec, s[18:19]
	v_lshrrev_b16_e32 v0, 8, v19
	v_cmp_ne_u16_e32 vcc, 0, v0
	v_mov_b32_e32 v4, 0
	v_mov_b32_e32 v27, 0
	s_and_saveexec_b64 s[18:19], vcc
	s_cbranch_execz .LBB4_525
; %bb.520:                              ;   in Loop: Header=BB4_299 Depth=3
	v_cmp_ne_u16_e32 vcc, s36, v0
	v_bfrev_b32_e32 v27, 1
	s_and_saveexec_b64 s[72:73], vcc
	s_cbranch_execz .LBB4_524
; %bb.521:                              ;   in Loop: Header=BB4_299 Depth=3
	v_and_b32_e32 v23, 0x7f, v0
	v_cmp_ne_u32_e32 vcc, s37, v23
	v_mov_b32_e32 v27, 0x7f800001
	s_and_saveexec_b64 s[74:75], vcc
	s_cbranch_execz .LBB4_523
; %bb.522:                              ;   in Loop: Header=BB4_299 Depth=3
	v_and_b32_e32 v27, 7, v0
	v_lshrrev_b32_e32 v28, 3, v23
	v_cmp_gt_u32_e32 vcc, 8, v23
	v_ffbh_u32_e32 v23, v27
	v_min_u32_e32 v42, 32, v23
	v_subrev_u32_e32 v23, 28, v42
	v_lshlrev_b64 v[23:24], v23, v[0:1]
	v_sub_u32_e32 v0, 29, v42
	v_and_b32_e32 v23, 7, v23
	v_cndmask_b32_e32 v0, v28, v0, vcc
	v_cndmask_b32_e32 v23, v27, v23, vcc
	v_lshlrev_b32_e32 v24, 16, v19
	v_lshlrev_b32_e32 v23, 20, v23
	v_and_b32_e32 v24, 0x80000000, v24
	v_lshl_add_u32 v0, v0, 23, v7
	v_or3_b32 v27, v24, v0, v23
.LBB4_523:                              ;   in Loop: Header=BB4_299 Depth=3
	s_or_b64 exec, exec, s[74:75]
.LBB4_524:                              ;   in Loop: Header=BB4_299 Depth=3
	s_or_b64 exec, exec, s[72:73]
.LBB4_525:                              ;   in Loop: Header=BB4_299 Depth=3
	s_or_b64 exec, exec, s[18:19]
	v_lshrrev_b16_e32 v0, 8, v20
	v_cmp_ne_u16_e32 vcc, 0, v0
	s_and_saveexec_b64 s[18:19], vcc
	s_cbranch_execz .LBB4_531
; %bb.526:                              ;   in Loop: Header=BB4_299 Depth=3
	v_cmp_ne_u16_e32 vcc, s36, v0
	v_bfrev_b32_e32 v4, 1
	s_and_saveexec_b64 s[72:73], vcc
	s_cbranch_execz .LBB4_530
; %bb.527:                              ;   in Loop: Header=BB4_299 Depth=3
	v_and_b32_e32 v23, 0x7f, v0
	v_cmp_ne_u32_e32 vcc, s37, v23
	v_mov_b32_e32 v4, 0x7f800001
	s_and_saveexec_b64 s[74:75], vcc
	s_cbranch_execz .LBB4_529
; %bb.528:                              ;   in Loop: Header=BB4_299 Depth=3
	v_and_b32_e32 v4, 7, v0
	v_lshrrev_b32_e32 v28, 3, v23
	v_cmp_gt_u32_e32 vcc, 8, v23
	v_ffbh_u32_e32 v23, v4
	v_min_u32_e32 v42, 32, v23
	v_subrev_u32_e32 v23, 28, v42
	v_lshlrev_b64 v[23:24], v23, v[0:1]
	v_sub_u32_e32 v0, 29, v42
	v_and_b32_e32 v23, 7, v23
	v_cndmask_b32_e32 v0, v28, v0, vcc
	v_cndmask_b32_e32 v4, v4, v23, vcc
	v_lshlrev_b32_e32 v20, 16, v20
	v_lshlrev_b32_e32 v4, 20, v4
	v_and_b32_e32 v20, 0x80000000, v20
	v_lshl_add_u32 v0, v0, 23, v7
	v_or3_b32 v4, v20, v0, v4
.LBB4_529:                              ;   in Loop: Header=BB4_299 Depth=3
	s_or_b64 exec, exec, s[74:75]
.LBB4_530:                              ;   in Loop: Header=BB4_299 Depth=3
	s_or_b64 exec, exec, s[72:73]
.LBB4_531:                              ;   in Loop: Header=BB4_299 Depth=3
	s_or_b64 exec, exec, s[18:19]
	v_add_f32_e32 v4, v27, v4
	v_and_b32_e32 v23, 0x7f800000, v4
	v_mov_b32_e32 v24, v41
	v_cmp_ne_u64_e32 vcc, s[46:47], v[23:24]
                                        ; implicit-def: $vgpr44
	s_and_saveexec_b64 s[18:19], vcc
	s_xor_b64 s[72:73], exec, s[18:19]
	s_cbranch_execz .LBB4_545
; %bb.532:                              ;   in Loop: Header=BB4_299 Depth=3
	v_and_b32_e32 v23, 0x7fffffff, v4
	v_mov_b32_e32 v24, v41
	v_cmp_gt_u64_e32 vcc, s[56:57], v[23:24]
	v_and_b32_sdwa v0, v4, s36 dst_sel:DWORD dst_unused:UNUSED_PAD src0_sel:BYTE_3 src1_sel:DWORD
                                        ; implicit-def: $vgpr44
	s_and_saveexec_b64 s[18:19], vcc
	s_xor_b64 s[74:75], exec, s[18:19]
	s_cbranch_execz .LBB4_542
; %bb.533:                              ;   in Loop: Header=BB4_299 Depth=3
	v_mov_b32_e32 v44, 0
	v_cmp_ne_u32_e32 vcc, 0, v4
	s_and_saveexec_b64 s[76:77], vcc
	s_cbranch_execz .LBB4_541
; %bb.534:                              ;   in Loop: Header=BB4_299 Depth=3
	v_and_b32_e32 v23, 0x7fffff, v4
	v_bfe_u32 v4, v4, 23, 8
	v_cmp_gt_u32_e64 s[18:19], s38, v4
	v_sub_u32_e32 v20, 0x79, v4
	v_cmp_eq_u32_e32 vcc, 0, v4
	v_cndmask_b32_e64 v20, 0, v20, s[18:19]
	v_cndmask_b32_e32 v20, v20, v8, vcc
	v_add_u32_e32 v27, 20, v20
	v_or_b32_e32 v24, 0x800000, v23
	v_lshlrev_b64 v[27:28], v27, -1
	v_add_u32_e32 v42, 19, v20
	v_cndmask_b32_e32 v23, v24, v23, vcc
	v_lshlrev_b64 v[42:43], v42, 1
	v_mov_b32_e32 v24, v41
	v_bfi_b32 v28, v28, 0, 0
	v_bfi_b32 v27, v27, 0, v23
	v_cmp_eq_u64_e64 s[18:19], v[27:28], v[42:43]
	v_lshrrev_b64 v[27:28], v20, v[23:24]
	v_mov_b32_e32 v43, v28
	v_mov_b32_e32 v42, v27
	s_and_saveexec_b64 s[78:79], s[18:19]
; %bb.535:                              ;   in Loop: Header=BB4_299 Depth=3
	v_bfe_u32 v23, v27, 20, 1
	v_add_co_u32_e64 v23, s[18:19], v27, v23
	v_add_co_u32_e64 v42, s[18:19], -1, v23
; %bb.536:                              ;   in Loop: Header=BB4_299 Depth=3
	s_or_b64 exec, exec, s[78:79]
	v_add_u32_e32 v4, 0xffffff81, v4
	v_cndmask_b32_e32 v4, v4, v54, vcc
	v_lshrrev_b32_e32 v23, 23, v27
	v_add3_u32 v23, v20, v4, v23
	v_add_u32_e32 v20, 6, v23
	v_and_b32_e32 v4, 0xfffff, v42
	v_add_u32_e32 v27, v4, v27
	v_mov_b32_e32 v28, v41
	v_cmp_ne_u32_e32 vcc, 0, v20
                                        ; implicit-def: $vgpr4
	s_and_saveexec_b64 s[18:19], vcc
	s_xor_b64 s[18:19], exec, s[18:19]
; %bb.537:                              ;   in Loop: Header=BB4_299 Depth=3
	v_cmp_lt_u64_e32 vcc, s[58:59], v[27:28]
	v_add_u32_e32 v4, 7, v23
	v_cndmask_b32_e32 v4, v20, v4, vcc
	v_cndmask_b32_e64 v20, 0, 1, vcc
	v_lshrrev_b64 v[27:28], v20, v[27:28]
; %bb.538:                              ;   in Loop: Header=BB4_299 Depth=3
	s_andn2_saveexec_b64 s[18:19], s[18:19]
; %bb.539:                              ;   in Loop: Header=BB4_299 Depth=3
	v_bfe_u32 v4, v27, 23, 1
; %bb.540:                              ;   in Loop: Header=BB4_299 Depth=3
	s_or_b64 exec, exec, s[18:19]
	v_lshrrev_b64 v[23:24], 20, v[27:28]
	v_cmp_gt_i32_e32 vcc, 16, v4
	v_cndmask_b32_e32 v24, 0, v24, vcc
	v_cndmask_b32_e32 v23, 7, v23, vcc
	v_cmp_eq_u32_e32 vcc, 0, v4
	v_min_i32_e32 v4, 15, v4
	v_cmp_eq_u64_e64 s[18:19], 0, v[23:24]
	v_lshlrev_b32_e32 v4, 3, v4
	v_and_b32_e32 v4, 0xf8, v4
	v_and_or_b32 v4, v23, 7, v4
	s_and_b64 s[18:19], vcc, s[18:19]
	v_cndmask_b32_e64 v4, v4, 0, s[18:19]
	v_or_b32_e32 v44, v4, v0
.LBB4_541:                              ;   in Loop: Header=BB4_299 Depth=3
	s_or_b64 exec, exec, s[76:77]
                                        ; implicit-def: $vgpr0
.LBB4_542:                              ;   in Loop: Header=BB4_299 Depth=3
	s_andn2_saveexec_b64 s[18:19], s[74:75]
; %bb.543:                              ;   in Loop: Header=BB4_299 Depth=3
	v_or_b32_e32 v44, 0x7e, v0
; %bb.544:                              ;   in Loop: Header=BB4_299 Depth=3
	s_or_b64 exec, exec, s[18:19]
                                        ; implicit-def: $vgpr4
.LBB4_545:                              ;   in Loop: Header=BB4_299 Depth=3
	s_andn2_saveexec_b64 s[18:19], s[72:73]
; %bb.546:                              ;   in Loop: Header=BB4_299 Depth=3
	v_or_b32_sdwa v44, v4, s37 dst_sel:DWORD dst_unused:UNUSED_PAD src0_sel:BYTE_3 src1_sel:DWORD
; %bb.547:                              ;   in Loop: Header=BB4_299 Depth=3
	s_or_b64 exec, exec, s[18:19]
	v_lshrrev_b32_e32 v0, 16, v19
	v_cmp_ne_u16_sdwa s[72:73], v0, v41 src0_sel:BYTE_0 src1_sel:DWORD
	v_mov_b32_e32 v4, 0
	v_mov_b32_e32 v20, 0
	s_and_saveexec_b64 s[18:19], s[72:73]
	s_cbranch_execz .LBB4_553
; %bb.548:                              ;   in Loop: Header=BB4_299 Depth=3
	v_cmp_ne_u16_sdwa s[74:75], v0, s36 src0_sel:BYTE_0 src1_sel:DWORD
	v_bfrev_b32_e32 v20, 1
	s_and_saveexec_b64 s[72:73], s[74:75]
	s_cbranch_execz .LBB4_552
; %bb.549:                              ;   in Loop: Header=BB4_299 Depth=3
	v_bfe_u32 v23, v19, 16, 7
	v_cmp_ne_u32_e32 vcc, s37, v23
	v_mov_b32_e32 v20, 0x7f800001
	s_and_saveexec_b64 s[74:75], vcc
	s_cbranch_execz .LBB4_551
; %bb.550:                              ;   in Loop: Header=BB4_299 Depth=3
	v_and_b32_e32 v20, 7, v0
	v_lshrrev_b32_e32 v27, 3, v23
	v_cmp_gt_u32_e32 vcc, 8, v23
	v_ffbh_u32_e32 v23, v20
	v_min_u32_e32 v28, 32, v23
	v_subrev_u32_e32 v23, 28, v28
	v_lshlrev_b64 v[23:24], v23, v[0:1]
	v_sub_u32_e32 v24, 29, v28
	v_and_b32_e32 v23, 7, v23
	v_cndmask_b32_e32 v24, v27, v24, vcc
	v_cndmask_b32_e32 v20, v20, v23, vcc
	v_lshlrev_b32_e32 v0, 24, v0
	v_lshlrev_b32_e32 v20, 20, v20
	v_and_b32_e32 v0, 0x80000000, v0
	v_lshl_add_u32 v23, v24, 23, v7
	v_or3_b32 v20, v0, v23, v20
.LBB4_551:                              ;   in Loop: Header=BB4_299 Depth=3
	s_or_b64 exec, exec, s[74:75]
.LBB4_552:                              ;   in Loop: Header=BB4_299 Depth=3
	s_or_b64 exec, exec, s[72:73]
.LBB4_553:                              ;   in Loop: Header=BB4_299 Depth=3
	s_or_b64 exec, exec, s[18:19]
	v_and_b32_sdwa v23, v40, s35 dst_sel:DWORD dst_unused:UNUSED_PAD src0_sel:WORD_1 src1_sel:DWORD
	v_lshrrev_b32_e32 v0, 16, v40
	v_cmp_ne_u16_e32 vcc, 0, v23
	s_and_saveexec_b64 s[18:19], vcc
	s_cbranch_execz .LBB4_559
; %bb.554:                              ;   in Loop: Header=BB4_299 Depth=3
	v_cmp_ne_u16_e32 vcc, s36, v23
	v_bfrev_b32_e32 v4, 1
	s_and_saveexec_b64 s[72:73], vcc
	s_cbranch_execz .LBB4_558
; %bb.555:                              ;   in Loop: Header=BB4_299 Depth=3
	v_bfe_u32 v23, v40, 16, 7
	v_cmp_ne_u32_e32 vcc, s37, v23
	v_mov_b32_e32 v4, 0x7f800001
	s_and_saveexec_b64 s[74:75], vcc
	s_cbranch_execz .LBB4_557
; %bb.556:                              ;   in Loop: Header=BB4_299 Depth=3
	v_and_b32_e32 v4, 7, v0
	v_lshrrev_b32_e32 v27, 3, v23
	v_cmp_gt_u32_e32 vcc, 8, v23
	v_ffbh_u32_e32 v23, v4
	v_min_u32_e32 v28, 32, v23
	v_subrev_u32_e32 v23, 28, v28
	v_lshlrev_b64 v[23:24], v23, v[0:1]
	v_sub_u32_e32 v0, 29, v28
	v_and_b32_e32 v23, 7, v23
	v_cndmask_b32_e32 v0, v27, v0, vcc
	v_cndmask_b32_e32 v4, v4, v23, vcc
	v_lshlrev_b32_e32 v23, 8, v40
	v_lshlrev_b32_e32 v4, 20, v4
	v_and_b32_e32 v23, 0x80000000, v23
	v_lshl_add_u32 v0, v0, 23, v7
	v_or3_b32 v4, v23, v0, v4
.LBB4_557:                              ;   in Loop: Header=BB4_299 Depth=3
	s_or_b64 exec, exec, s[74:75]
.LBB4_558:                              ;   in Loop: Header=BB4_299 Depth=3
	s_or_b64 exec, exec, s[72:73]
.LBB4_559:                              ;   in Loop: Header=BB4_299 Depth=3
	s_or_b64 exec, exec, s[18:19]
	v_add_f32_e32 v4, v20, v4
	v_and_b32_e32 v23, 0x7f800000, v4
	v_mov_b32_e32 v24, v41
	v_cmp_ne_u64_e32 vcc, s[46:47], v[23:24]
                                        ; implicit-def: $vgpr42
	s_and_saveexec_b64 s[18:19], vcc
	s_xor_b64 s[72:73], exec, s[18:19]
	s_cbranch_execz .LBB4_573
; %bb.560:                              ;   in Loop: Header=BB4_299 Depth=3
	v_and_b32_e32 v23, 0x7fffffff, v4
	v_mov_b32_e32 v24, v41
	v_cmp_gt_u64_e32 vcc, s[56:57], v[23:24]
	v_and_b32_sdwa v0, v4, s36 dst_sel:DWORD dst_unused:UNUSED_PAD src0_sel:BYTE_3 src1_sel:DWORD
                                        ; implicit-def: $vgpr42
	s_and_saveexec_b64 s[18:19], vcc
	s_xor_b64 s[74:75], exec, s[18:19]
	s_cbranch_execz .LBB4_570
; %bb.561:                              ;   in Loop: Header=BB4_299 Depth=3
	v_mov_b32_e32 v42, 0
	v_cmp_ne_u32_e32 vcc, 0, v4
	s_and_saveexec_b64 s[76:77], vcc
	s_cbranch_execz .LBB4_569
; %bb.562:                              ;   in Loop: Header=BB4_299 Depth=3
	v_and_b32_e32 v23, 0x7fffff, v4
	v_bfe_u32 v4, v4, 23, 8
	v_cmp_gt_u32_e64 s[18:19], s38, v4
	v_sub_u32_e32 v20, 0x79, v4
	v_cmp_eq_u32_e32 vcc, 0, v4
	v_cndmask_b32_e64 v20, 0, v20, s[18:19]
	v_cndmask_b32_e32 v20, v20, v8, vcc
	v_add_u32_e32 v27, 20, v20
	v_or_b32_e32 v24, 0x800000, v23
	v_lshlrev_b64 v[27:28], v27, -1
	v_add_u32_e32 v42, 19, v20
	v_cndmask_b32_e32 v23, v24, v23, vcc
	v_lshlrev_b64 v[42:43], v42, 1
	v_mov_b32_e32 v24, v41
	v_bfi_b32 v28, v28, 0, 0
	v_bfi_b32 v27, v27, 0, v23
	v_cmp_eq_u64_e64 s[18:19], v[27:28], v[42:43]
	v_lshrrev_b64 v[27:28], v20, v[23:24]
	v_mov_b32_e32 v43, v28
	v_mov_b32_e32 v42, v27
	s_and_saveexec_b64 s[78:79], s[18:19]
; %bb.563:                              ;   in Loop: Header=BB4_299 Depth=3
	v_bfe_u32 v23, v27, 20, 1
	v_add_co_u32_e64 v23, s[18:19], v27, v23
	v_add_co_u32_e64 v42, s[18:19], -1, v23
; %bb.564:                              ;   in Loop: Header=BB4_299 Depth=3
	s_or_b64 exec, exec, s[78:79]
	v_add_u32_e32 v4, 0xffffff81, v4
	v_cndmask_b32_e32 v4, v4, v54, vcc
	v_lshrrev_b32_e32 v23, 23, v27
	v_add3_u32 v23, v20, v4, v23
	v_add_u32_e32 v20, 6, v23
	v_and_b32_e32 v4, 0xfffff, v42
	v_add_u32_e32 v27, v4, v27
	v_mov_b32_e32 v28, v41
	v_cmp_ne_u32_e32 vcc, 0, v20
                                        ; implicit-def: $vgpr4
	s_and_saveexec_b64 s[18:19], vcc
	s_xor_b64 s[18:19], exec, s[18:19]
; %bb.565:                              ;   in Loop: Header=BB4_299 Depth=3
	v_cmp_lt_u64_e32 vcc, s[58:59], v[27:28]
	v_add_u32_e32 v4, 7, v23
	v_cndmask_b32_e32 v4, v20, v4, vcc
	v_cndmask_b32_e64 v20, 0, 1, vcc
	v_lshrrev_b64 v[27:28], v20, v[27:28]
; %bb.566:                              ;   in Loop: Header=BB4_299 Depth=3
	s_andn2_saveexec_b64 s[18:19], s[18:19]
; %bb.567:                              ;   in Loop: Header=BB4_299 Depth=3
	v_bfe_u32 v4, v27, 23, 1
; %bb.568:                              ;   in Loop: Header=BB4_299 Depth=3
	s_or_b64 exec, exec, s[18:19]
	v_lshrrev_b64 v[23:24], 20, v[27:28]
	v_cmp_gt_i32_e32 vcc, 16, v4
	v_cndmask_b32_e32 v24, 0, v24, vcc
	v_cndmask_b32_e32 v23, 7, v23, vcc
	v_cmp_eq_u32_e32 vcc, 0, v4
	v_min_i32_e32 v4, 15, v4
	v_cmp_eq_u64_e64 s[18:19], 0, v[23:24]
	v_lshlrev_b32_e32 v4, 3, v4
	v_and_b32_e32 v4, 0xf8, v4
	v_and_or_b32 v4, v23, 7, v4
	s_and_b64 s[18:19], vcc, s[18:19]
	v_cndmask_b32_e64 v4, v4, 0, s[18:19]
	v_or_b32_e32 v42, v4, v0
.LBB4_569:                              ;   in Loop: Header=BB4_299 Depth=3
	s_or_b64 exec, exec, s[76:77]
                                        ; implicit-def: $vgpr0
.LBB4_570:                              ;   in Loop: Header=BB4_299 Depth=3
	s_andn2_saveexec_b64 s[18:19], s[74:75]
; %bb.571:                              ;   in Loop: Header=BB4_299 Depth=3
	v_or_b32_e32 v42, 0x7e, v0
; %bb.572:                              ;   in Loop: Header=BB4_299 Depth=3
	s_or_b64 exec, exec, s[18:19]
                                        ; implicit-def: $vgpr4
.LBB4_573:                              ;   in Loop: Header=BB4_299 Depth=3
	s_andn2_saveexec_b64 s[18:19], s[72:73]
; %bb.574:                              ;   in Loop: Header=BB4_299 Depth=3
	v_or_b32_sdwa v42, v4, s37 dst_sel:DWORD dst_unused:UNUSED_PAD src0_sel:BYTE_3 src1_sel:DWORD
; %bb.575:                              ;   in Loop: Header=BB4_299 Depth=3
	s_or_b64 exec, exec, s[18:19]
	v_cmp_lt_u32_e32 vcc, s39, v19
	v_mov_b32_e32 v4, 0
	v_mov_b32_e32 v20, 0
	s_and_saveexec_b64 s[18:19], vcc
	s_cbranch_execz .LBB4_581
; %bb.576:                              ;   in Loop: Header=BB4_299 Depth=3
	v_lshrrev_b32_e32 v0, 24, v19
	v_cmp_ne_u32_e32 vcc, s36, v0
	v_bfrev_b32_e32 v20, 1
	s_and_saveexec_b64 s[72:73], vcc
	s_cbranch_execz .LBB4_580
; %bb.577:                              ;   in Loop: Header=BB4_299 Depth=3
	v_bfe_u32 v19, v19, 24, 7
	v_cmp_ne_u32_e32 vcc, s37, v19
	v_mov_b32_e32 v20, 0x7f800001
	s_and_saveexec_b64 s[74:75], vcc
	s_cbranch_execz .LBB4_579
; %bb.578:                              ;   in Loop: Header=BB4_299 Depth=3
	v_and_b32_e32 v23, 7, v0
	v_lshrrev_b32_e32 v24, 3, v19
	v_cmp_gt_u32_e32 vcc, 8, v19
	v_ffbh_u32_e32 v19, v23
	v_min_u32_e32 v27, 32, v19
	v_subrev_u32_e32 v19, 28, v27
	v_lshlrev_b64 v[19:20], v19, v[0:1]
	v_sub_u32_e32 v20, 29, v27
	v_and_b32_e32 v19, 7, v19
	v_cndmask_b32_e32 v20, v24, v20, vcc
	v_cndmask_b32_e32 v19, v23, v19, vcc
	v_lshlrev_b32_e32 v0, 24, v0
	v_lshlrev_b32_e32 v19, 20, v19
	v_and_b32_e32 v0, 0x80000000, v0
	v_lshl_add_u32 v20, v20, 23, v7
	v_or3_b32 v20, v0, v20, v19
.LBB4_579:                              ;   in Loop: Header=BB4_299 Depth=3
	s_or_b64 exec, exec, s[74:75]
.LBB4_580:                              ;   in Loop: Header=BB4_299 Depth=3
	s_or_b64 exec, exec, s[72:73]
.LBB4_581:                              ;   in Loop: Header=BB4_299 Depth=3
	s_or_b64 exec, exec, s[18:19]
	v_cmp_lt_u32_e32 vcc, s39, v40
	s_and_saveexec_b64 s[18:19], vcc
	s_cbranch_execz .LBB4_587
; %bb.582:                              ;   in Loop: Header=BB4_299 Depth=3
	v_lshrrev_b32_e32 v0, 24, v40
	v_cmp_ne_u32_e32 vcc, s36, v0
	v_bfrev_b32_e32 v4, 1
	s_and_saveexec_b64 s[72:73], vcc
	s_cbranch_execz .LBB4_586
; %bb.583:                              ;   in Loop: Header=BB4_299 Depth=3
	v_bfe_u32 v19, v40, 24, 7
	v_cmp_ne_u32_e32 vcc, s37, v19
	v_mov_b32_e32 v4, 0x7f800001
	s_and_saveexec_b64 s[74:75], vcc
	s_cbranch_execz .LBB4_585
; %bb.584:                              ;   in Loop: Header=BB4_299 Depth=3
	v_and_b32_e32 v4, 7, v0
	v_lshrrev_b32_e32 v27, 3, v19
	v_cmp_gt_u32_e32 vcc, 8, v19
	v_ffbh_u32_e32 v19, v4
	v_min_u32_e32 v19, 32, v19
	v_subrev_u32_e32 v23, 28, v19
	v_lshlrev_b64 v[23:24], v23, v[0:1]
	v_sub_u32_e32 v19, 29, v19
	v_and_b32_e32 v23, 7, v23
	v_cndmask_b32_e32 v19, v27, v19, vcc
	v_cndmask_b32_e32 v4, v4, v23, vcc
	v_lshlrev_b32_e32 v0, 24, v0
	v_lshlrev_b32_e32 v4, 20, v4
	v_and_b32_e32 v0, 0x80000000, v0
	v_lshl_add_u32 v19, v19, 23, v7
	v_or3_b32 v4, v0, v19, v4
.LBB4_585:                              ;   in Loop: Header=BB4_299 Depth=3
	s_or_b64 exec, exec, s[74:75]
.LBB4_586:                              ;   in Loop: Header=BB4_299 Depth=3
	s_or_b64 exec, exec, s[72:73]
.LBB4_587:                              ;   in Loop: Header=BB4_299 Depth=3
	s_or_b64 exec, exec, s[18:19]
	v_add_f32_e32 v4, v20, v4
	v_and_b32_e32 v40, 0x7f800000, v4
	v_cmp_ne_u64_e32 vcc, s[46:47], v[40:41]
                                        ; implicit-def: $vgpr43
	s_and_saveexec_b64 s[18:19], vcc
	s_xor_b64 s[72:73], exec, s[18:19]
	s_cbranch_execz .LBB4_601
; %bb.588:                              ;   in Loop: Header=BB4_299 Depth=3
	v_and_b32_e32 v40, 0x7fffffff, v4
	v_cmp_gt_u64_e32 vcc, s[56:57], v[40:41]
	v_and_b32_sdwa v0, v4, s36 dst_sel:DWORD dst_unused:UNUSED_PAD src0_sel:BYTE_3 src1_sel:DWORD
                                        ; implicit-def: $vgpr43
	s_and_saveexec_b64 s[18:19], vcc
	s_xor_b64 s[74:75], exec, s[18:19]
	s_cbranch_execz .LBB4_598
; %bb.589:                              ;   in Loop: Header=BB4_299 Depth=3
	v_mov_b32_e32 v43, 0
	v_cmp_ne_u32_e32 vcc, 0, v4
	s_and_saveexec_b64 s[76:77], vcc
	s_cbranch_execz .LBB4_597
; %bb.590:                              ;   in Loop: Header=BB4_299 Depth=3
	v_and_b32_e32 v19, 0x7fffff, v4
	v_bfe_u32 v4, v4, 23, 8
	v_cmp_gt_u32_e64 s[18:19], s38, v4
	v_sub_u32_e32 v20, 0x79, v4
	v_cmp_eq_u32_e32 vcc, 0, v4
	v_cndmask_b32_e64 v20, 0, v20, s[18:19]
	v_or_b32_e32 v24, 0x800000, v19
	v_cndmask_b32_e32 v23, v20, v8, vcc
	v_cndmask_b32_e32 v40, v24, v19, vcc
	v_add_u32_e32 v19, 20, v23
	v_lshlrev_b64 v[19:20], v19, -1
	v_add_u32_e32 v24, 19, v23
	v_lshlrev_b64 v[27:28], v24, 1
	v_bfi_b32 v20, v20, 0, 0
	v_bfi_b32 v19, v19, 0, v40
	v_cmp_eq_u64_e64 s[18:19], v[19:20], v[27:28]
	v_lshrrev_b64 v[19:20], v23, v[40:41]
	v_mov_b32_e32 v28, v20
	v_mov_b32_e32 v27, v19
	s_and_saveexec_b64 s[78:79], s[18:19]
; %bb.591:                              ;   in Loop: Header=BB4_299 Depth=3
	v_bfe_u32 v20, v19, 20, 1
	v_add_co_u32_e64 v20, s[18:19], v19, v20
	v_add_co_u32_e64 v27, s[18:19], -1, v20
; %bb.592:                              ;   in Loop: Header=BB4_299 Depth=3
	s_or_b64 exec, exec, s[78:79]
	v_add_u32_e32 v4, 0xffffff81, v4
	v_cndmask_b32_e32 v4, v4, v54, vcc
	v_lshrrev_b32_e32 v20, 23, v19
	v_add3_u32 v24, v23, v4, v20
	v_add_u32_e32 v23, 6, v24
	v_and_b32_e32 v4, 0xfffff, v27
	v_add_u32_e32 v40, v4, v19
	v_cmp_ne_u32_e32 vcc, 0, v23
                                        ; implicit-def: $vgpr19_vgpr20
                                        ; implicit-def: $vgpr4
	s_and_saveexec_b64 s[18:19], vcc
	s_xor_b64 s[18:19], exec, s[18:19]
; %bb.593:                              ;   in Loop: Header=BB4_299 Depth=3
	v_cmp_lt_u64_e32 vcc, s[58:59], v[40:41]
	v_add_u32_e32 v4, 7, v24
	v_cndmask_b32_e64 v19, 0, 1, vcc
	v_cndmask_b32_e32 v4, v23, v4, vcc
	v_lshrrev_b64 v[19:20], v19, v[40:41]
; %bb.594:                              ;   in Loop: Header=BB4_299 Depth=3
	s_andn2_saveexec_b64 s[18:19], s[18:19]
; %bb.595:                              ;   in Loop: Header=BB4_299 Depth=3
	v_mov_b32_e32 v19, v40
	v_bfe_u32 v4, v40, 23, 1
	v_mov_b32_e32 v20, v41
; %bb.596:                              ;   in Loop: Header=BB4_299 Depth=3
	s_or_b64 exec, exec, s[18:19]
	v_lshrrev_b64 v[19:20], 20, v[19:20]
	v_cmp_gt_i32_e32 vcc, 16, v4
	v_cndmask_b32_e32 v20, 0, v20, vcc
	v_cndmask_b32_e32 v19, 7, v19, vcc
	v_cmp_eq_u32_e32 vcc, 0, v4
	v_min_i32_e32 v4, 15, v4
	v_cmp_eq_u64_e64 s[18:19], 0, v[19:20]
	v_lshlrev_b32_e32 v4, 3, v4
	v_and_b32_e32 v4, 0xf8, v4
	v_and_or_b32 v4, v19, 7, v4
	s_and_b64 s[18:19], vcc, s[18:19]
	v_cndmask_b32_e64 v4, v4, 0, s[18:19]
	v_or_b32_e32 v43, v4, v0
.LBB4_597:                              ;   in Loop: Header=BB4_299 Depth=3
	s_or_b64 exec, exec, s[76:77]
                                        ; implicit-def: $vgpr0
.LBB4_598:                              ;   in Loop: Header=BB4_299 Depth=3
	s_andn2_saveexec_b64 s[18:19], s[74:75]
; %bb.599:                              ;   in Loop: Header=BB4_299 Depth=3
	v_or_b32_e32 v43, 0x7e, v0
; %bb.600:                              ;   in Loop: Header=BB4_299 Depth=3
	s_or_b64 exec, exec, s[18:19]
                                        ; implicit-def: $vgpr4
.LBB4_601:                              ;   in Loop: Header=BB4_299 Depth=3
	s_andn2_saveexec_b64 s[18:19], s[72:73]
; %bb.602:                              ;   in Loop: Header=BB4_299 Depth=3
	v_or_b32_sdwa v43, v4, s37 dst_sel:DWORD dst_unused:UNUSED_PAD src0_sel:BYTE_3 src1_sel:DWORD
; %bb.603:                              ;   in Loop: Header=BB4_299 Depth=3
	s_or_b64 exec, exec, s[18:19]
	v_cmp_ne_u16_sdwa s[72:73], v21, v41 src0_sel:BYTE_0 src1_sel:DWORD
	v_mov_b32_e32 v0, 0
	v_mov_b32_e32 v4, 0
	s_and_saveexec_b64 s[18:19], s[72:73]
	s_cbranch_execz .LBB4_609
; %bb.604:                              ;   in Loop: Header=BB4_299 Depth=3
	v_cmp_ne_u16_sdwa s[74:75], v21, s36 src0_sel:BYTE_0 src1_sel:DWORD
	v_bfrev_b32_e32 v4, 1
	s_and_saveexec_b64 s[72:73], s[74:75]
	s_cbranch_execz .LBB4_608
; %bb.605:                              ;   in Loop: Header=BB4_299 Depth=3
	v_and_b32_e32 v19, 0x7f, v21
	v_cmp_ne_u32_e32 vcc, s37, v19
	v_mov_b32_e32 v4, 0x7f800001
	s_and_saveexec_b64 s[74:75], vcc
	s_cbranch_execz .LBB4_607
; %bb.606:                              ;   in Loop: Header=BB4_299 Depth=3
	v_and_b32_e32 v4, 7, v21
	v_ffbh_u32_e32 v4, v4
	v_min_u32_e32 v4, 32, v4
	v_lshrrev_b32_e32 v20, 3, v19
	v_cmp_gt_u32_e32 vcc, 8, v19
	v_subrev_u32_e32 v19, 28, v4
	v_sub_u32_e32 v4, 29, v4
	v_cndmask_b32_e32 v19, 0, v19, vcc
	v_cndmask_b32_e32 v4, v20, v4, vcc
	v_lshlrev_b64 v[19:20], v19, v[21:22]
	v_lshlrev_b32_e32 v20, 24, v21
	v_lshlrev_b32_e32 v19, 20, v19
	v_and_b32_e32 v19, 0x700000, v19
	v_and_b32_e32 v20, 0x80000000, v20
	v_lshl_add_u32 v4, v4, 23, v7
	v_or3_b32 v4, v20, v4, v19
.LBB4_607:                              ;   in Loop: Header=BB4_299 Depth=3
	s_or_b64 exec, exec, s[74:75]
.LBB4_608:                              ;   in Loop: Header=BB4_299 Depth=3
	s_or_b64 exec, exec, s[72:73]
.LBB4_609:                              ;   in Loop: Header=BB4_299 Depth=3
	s_or_b64 exec, exec, s[18:19]
	v_lshlrev_b32_e32 v19, 24, v57
	v_lshlrev_b32_e32 v20, 16, v31
	v_lshl_or_b32 v22, v45, 8, v59
	v_or3_b32 v40, v20, v19, v22
	v_cmp_ne_u32_e32 vcc, 0, v59
	s_and_saveexec_b64 s[18:19], vcc
	s_cbranch_execz .LBB4_615
; %bb.610:                              ;   in Loop: Header=BB4_299 Depth=3
	v_cmp_ne_u32_e32 vcc, s36, v59
	v_bfrev_b32_e32 v0, 1
	s_and_saveexec_b64 s[72:73], vcc
	s_cbranch_execz .LBB4_614
; %bb.611:                              ;   in Loop: Header=BB4_299 Depth=3
	v_and_b32_e32 v19, 0x7f, v59
	v_cmp_ne_u32_e32 vcc, s37, v19
	v_mov_b32_e32 v0, 0x7f800001
	s_and_saveexec_b64 s[74:75], vcc
	s_cbranch_execz .LBB4_613
; %bb.612:                              ;   in Loop: Header=BB4_299 Depth=3
	v_and_b32_e32 v0, 7, v59
	v_ffbh_u32_e32 v0, v0
	v_min_u32_e32 v0, 32, v0
	v_lshrrev_b32_e32 v20, 3, v19
	v_cmp_gt_u32_e32 vcc, 8, v19
	v_subrev_u32_e32 v19, 28, v0
	v_sub_u32_e32 v0, 29, v0
	v_cndmask_b32_e32 v19, 0, v19, vcc
	v_cndmask_b32_e32 v0, v20, v0, vcc
	v_lshlrev_b64 v[19:20], v19, v[40:41]
	v_lshlrev_b32_e32 v20, 24, v40
	v_lshlrev_b32_e32 v19, 20, v19
	v_and_b32_e32 v19, 0x700000, v19
	v_and_b32_e32 v20, 0x80000000, v20
	v_lshl_add_u32 v0, v0, 23, v7
	v_or3_b32 v0, v20, v0, v19
.LBB4_613:                              ;   in Loop: Header=BB4_299 Depth=3
	s_or_b64 exec, exec, s[74:75]
.LBB4_614:                              ;   in Loop: Header=BB4_299 Depth=3
	s_or_b64 exec, exec, s[72:73]
.LBB4_615:                              ;   in Loop: Header=BB4_299 Depth=3
	s_or_b64 exec, exec, s[18:19]
	v_add_f32_e32 v19, v4, v0
	v_and_b32_e32 v23, 0x7f800000, v19
	v_mov_b32_e32 v24, v41
	v_cmp_ne_u64_e32 vcc, s[46:47], v[23:24]
                                        ; implicit-def: $vgpr4
	s_and_saveexec_b64 s[18:19], vcc
	s_xor_b64 s[72:73], exec, s[18:19]
	s_cbranch_execz .LBB4_629
; %bb.616:                              ;   in Loop: Header=BB4_299 Depth=3
	v_and_b32_e32 v23, 0x7fffffff, v19
	v_mov_b32_e32 v24, v41
	v_cmp_gt_u64_e32 vcc, s[56:57], v[23:24]
	v_and_b32_sdwa v0, v19, s36 dst_sel:DWORD dst_unused:UNUSED_PAD src0_sel:BYTE_3 src1_sel:DWORD
                                        ; implicit-def: $vgpr4
	s_and_saveexec_b64 s[18:19], vcc
	s_xor_b64 s[74:75], exec, s[18:19]
	s_cbranch_execz .LBB4_626
; %bb.617:                              ;   in Loop: Header=BB4_299 Depth=3
	v_mov_b32_e32 v4, 0
	v_cmp_ne_u32_e32 vcc, 0, v19
	s_and_saveexec_b64 s[76:77], vcc
	s_cbranch_execz .LBB4_625
; %bb.618:                              ;   in Loop: Header=BB4_299 Depth=3
	v_bfe_u32 v4, v19, 23, 8
	v_and_b32_e32 v20, 0x7fffff, v19
	v_cmp_gt_u32_e64 s[18:19], s38, v4
	v_sub_u32_e32 v19, 0x79, v4
	v_cmp_eq_u32_e32 vcc, 0, v4
	v_cndmask_b32_e64 v19, 0, v19, s[18:19]
	v_or_b32_e32 v24, 0x800000, v20
	v_cndmask_b32_e32 v23, v19, v8, vcc
	v_cndmask_b32_e32 v19, v24, v20, vcc
	v_add_u32_e32 v24, 20, v23
	v_lshlrev_b64 v[27:28], v24, -1
	v_mov_b32_e32 v20, v41
	v_add_u32_e32 v24, 19, v23
	v_bfi_b32 v27, v27, 0, v19
	v_lshlrev_b64 v[56:57], v24, 1
	v_lshrrev_b64 v[19:20], v23, v[19:20]
	v_bfi_b32 v28, v28, 0, 0
	v_cmp_eq_u64_e64 s[18:19], v[27:28], v[56:57]
	v_mov_b32_e32 v28, v20
	v_mov_b32_e32 v27, v19
	s_and_saveexec_b64 s[78:79], s[18:19]
; %bb.619:                              ;   in Loop: Header=BB4_299 Depth=3
	v_bfe_u32 v20, v19, 20, 1
	v_add_co_u32_e64 v20, s[18:19], v19, v20
	v_add_co_u32_e64 v27, s[18:19], -1, v20
; %bb.620:                              ;   in Loop: Header=BB4_299 Depth=3
	s_or_b64 exec, exec, s[78:79]
	v_add_u32_e32 v4, 0xffffff81, v4
	v_cndmask_b32_e32 v4, v4, v54, vcc
	v_lshrrev_b32_e32 v20, 23, v19
	v_add3_u32 v24, v23, v4, v20
	v_add_u32_e32 v23, 6, v24
	v_and_b32_e32 v4, 0xfffff, v27
	v_add_u32_e32 v19, v4, v19
	v_mov_b32_e32 v20, v41
	v_cmp_ne_u32_e32 vcc, 0, v23
                                        ; implicit-def: $vgpr4
	s_and_saveexec_b64 s[18:19], vcc
	s_xor_b64 s[18:19], exec, s[18:19]
; %bb.621:                              ;   in Loop: Header=BB4_299 Depth=3
	v_cmp_lt_u64_e32 vcc, s[58:59], v[19:20]
	v_add_u32_e32 v4, 7, v24
	v_cndmask_b32_e32 v4, v23, v4, vcc
	v_cndmask_b32_e64 v23, 0, 1, vcc
	v_lshrrev_b64 v[19:20], v23, v[19:20]
; %bb.622:                              ;   in Loop: Header=BB4_299 Depth=3
	s_andn2_saveexec_b64 s[18:19], s[18:19]
; %bb.623:                              ;   in Loop: Header=BB4_299 Depth=3
	v_bfe_u32 v4, v19, 23, 1
; %bb.624:                              ;   in Loop: Header=BB4_299 Depth=3
	s_or_b64 exec, exec, s[18:19]
	v_lshrrev_b64 v[19:20], 20, v[19:20]
	v_cmp_gt_i32_e32 vcc, 16, v4
	v_cndmask_b32_e32 v20, 0, v20, vcc
	v_cndmask_b32_e32 v19, 7, v19, vcc
	v_cmp_eq_u32_e32 vcc, 0, v4
	v_min_i32_e32 v4, 15, v4
	v_cmp_eq_u64_e64 s[18:19], 0, v[19:20]
	v_lshlrev_b32_e32 v4, 3, v4
	v_and_b32_e32 v4, 0xf8, v4
	v_and_or_b32 v4, v19, 7, v4
	s_and_b64 s[18:19], vcc, s[18:19]
	v_cndmask_b32_e64 v4, v4, 0, s[18:19]
	v_or_b32_e32 v4, v4, v0
.LBB4_625:                              ;   in Loop: Header=BB4_299 Depth=3
	s_or_b64 exec, exec, s[76:77]
                                        ; implicit-def: $vgpr0
.LBB4_626:                              ;   in Loop: Header=BB4_299 Depth=3
	s_andn2_saveexec_b64 s[18:19], s[74:75]
; %bb.627:                              ;   in Loop: Header=BB4_299 Depth=3
	v_or_b32_e32 v4, 0x7e, v0
; %bb.628:                              ;   in Loop: Header=BB4_299 Depth=3
	s_or_b64 exec, exec, s[18:19]
                                        ; implicit-def: $vgpr19
.LBB4_629:                              ;   in Loop: Header=BB4_299 Depth=3
	s_andn2_saveexec_b64 s[18:19], s[72:73]
; %bb.630:                              ;   in Loop: Header=BB4_299 Depth=3
	v_or_b32_sdwa v4, v19, s37 dst_sel:DWORD dst_unused:UNUSED_PAD src0_sel:BYTE_3 src1_sel:DWORD
; %bb.631:                              ;   in Loop: Header=BB4_299 Depth=3
	s_or_b64 exec, exec, s[18:19]
	v_lshrrev_b16_e32 v0, 8, v21
	v_cmp_ne_u16_e32 vcc, 0, v0
	v_mov_b32_e32 v19, 0
	v_mov_b32_e32 v20, 0
	s_and_saveexec_b64 s[18:19], vcc
	s_cbranch_execz .LBB4_637
; %bb.632:                              ;   in Loop: Header=BB4_299 Depth=3
	v_cmp_ne_u16_e32 vcc, s36, v0
	v_bfrev_b32_e32 v20, 1
	s_and_saveexec_b64 s[72:73], vcc
	s_cbranch_execz .LBB4_636
; %bb.633:                              ;   in Loop: Header=BB4_299 Depth=3
	v_and_b32_e32 v23, 0x7f, v0
	v_cmp_ne_u32_e32 vcc, s37, v23
	v_mov_b32_e32 v20, 0x7f800001
	s_and_saveexec_b64 s[74:75], vcc
	s_cbranch_execz .LBB4_635
; %bb.634:                              ;   in Loop: Header=BB4_299 Depth=3
	v_and_b32_e32 v20, 7, v0
	v_lshrrev_b32_e32 v27, 3, v23
	v_cmp_gt_u32_e32 vcc, 8, v23
	v_ffbh_u32_e32 v23, v20
	v_min_u32_e32 v28, 32, v23
	v_subrev_u32_e32 v23, 28, v28
	v_lshlrev_b64 v[23:24], v23, v[0:1]
	v_sub_u32_e32 v0, 29, v28
	v_and_b32_e32 v23, 7, v23
	v_cndmask_b32_e32 v0, v27, v0, vcc
	v_cndmask_b32_e32 v20, v20, v23, vcc
	v_lshlrev_b32_e32 v23, 16, v21
	v_lshlrev_b32_e32 v20, 20, v20
	v_and_b32_e32 v23, 0x80000000, v23
	v_lshl_add_u32 v0, v0, 23, v7
	v_or3_b32 v20, v23, v0, v20
.LBB4_635:                              ;   in Loop: Header=BB4_299 Depth=3
	s_or_b64 exec, exec, s[74:75]
.LBB4_636:                              ;   in Loop: Header=BB4_299 Depth=3
	s_or_b64 exec, exec, s[72:73]
.LBB4_637:                              ;   in Loop: Header=BB4_299 Depth=3
	s_or_b64 exec, exec, s[18:19]
	v_lshrrev_b16_e32 v0, 8, v22
	v_cmp_ne_u16_e32 vcc, 0, v0
	s_and_saveexec_b64 s[18:19], vcc
	s_cbranch_execz .LBB4_643
; %bb.638:                              ;   in Loop: Header=BB4_299 Depth=3
	v_cmp_ne_u16_e32 vcc, s36, v0
	v_bfrev_b32_e32 v19, 1
	s_and_saveexec_b64 s[72:73], vcc
	s_cbranch_execz .LBB4_642
; %bb.639:                              ;   in Loop: Header=BB4_299 Depth=3
	v_and_b32_e32 v23, 0x7f, v0
	v_cmp_ne_u32_e32 vcc, s37, v23
	v_mov_b32_e32 v19, 0x7f800001
	s_and_saveexec_b64 s[74:75], vcc
	s_cbranch_execz .LBB4_641
; %bb.640:                              ;   in Loop: Header=BB4_299 Depth=3
	v_and_b32_e32 v19, 7, v0
	v_lshrrev_b32_e32 v27, 3, v23
	v_cmp_gt_u32_e32 vcc, 8, v23
	v_ffbh_u32_e32 v23, v19
	v_min_u32_e32 v28, 32, v23
	v_subrev_u32_e32 v23, 28, v28
	v_lshlrev_b64 v[23:24], v23, v[0:1]
	v_sub_u32_e32 v0, 29, v28
	v_and_b32_e32 v23, 7, v23
	v_cndmask_b32_e32 v0, v27, v0, vcc
	v_cndmask_b32_e32 v19, v19, v23, vcc
	v_lshlrev_b32_e32 v22, 16, v22
	v_lshlrev_b32_e32 v19, 20, v19
	v_and_b32_e32 v22, 0x80000000, v22
	v_lshl_add_u32 v0, v0, 23, v7
	v_or3_b32 v19, v22, v0, v19
.LBB4_641:                              ;   in Loop: Header=BB4_299 Depth=3
	s_or_b64 exec, exec, s[74:75]
.LBB4_642:                              ;   in Loop: Header=BB4_299 Depth=3
	s_or_b64 exec, exec, s[72:73]
.LBB4_643:                              ;   in Loop: Header=BB4_299 Depth=3
	s_or_b64 exec, exec, s[18:19]
	v_add_f32_e32 v19, v20, v19
	v_and_b32_e32 v22, 0x7f800000, v19
	v_mov_b32_e32 v23, v41
	v_cmp_ne_u64_e32 vcc, s[46:47], v[22:23]
                                        ; implicit-def: $vgpr22
	s_and_saveexec_b64 s[18:19], vcc
	s_xor_b64 s[72:73], exec, s[18:19]
	s_cbranch_execz .LBB4_657
; %bb.644:                              ;   in Loop: Header=BB4_299 Depth=3
	v_and_b32_e32 v22, 0x7fffffff, v19
	v_mov_b32_e32 v23, v41
	v_cmp_gt_u64_e32 vcc, s[56:57], v[22:23]
	v_and_b32_sdwa v0, v19, s36 dst_sel:DWORD dst_unused:UNUSED_PAD src0_sel:BYTE_3 src1_sel:DWORD
                                        ; implicit-def: $vgpr22
	s_and_saveexec_b64 s[18:19], vcc
	s_xor_b64 s[74:75], exec, s[18:19]
	s_cbranch_execz .LBB4_654
; %bb.645:                              ;   in Loop: Header=BB4_299 Depth=3
	v_mov_b32_e32 v22, 0
	v_cmp_ne_u32_e32 vcc, 0, v19
	s_and_saveexec_b64 s[76:77], vcc
	s_cbranch_execz .LBB4_653
; %bb.646:                              ;   in Loop: Header=BB4_299 Depth=3
	v_bfe_u32 v22, v19, 23, 8
	v_and_b32_e32 v20, 0x7fffff, v19
	v_cmp_gt_u32_e64 s[18:19], s38, v22
	v_sub_u32_e32 v19, 0x79, v22
	v_cmp_eq_u32_e32 vcc, 0, v22
	v_cndmask_b32_e64 v19, 0, v19, s[18:19]
	v_or_b32_e32 v24, 0x800000, v20
	v_cndmask_b32_e32 v23, v19, v8, vcc
	v_cndmask_b32_e32 v19, v24, v20, vcc
	v_add_u32_e32 v24, 20, v23
	v_lshlrev_b64 v[27:28], v24, -1
	v_mov_b32_e32 v20, v41
	v_add_u32_e32 v24, 19, v23
	v_bfi_b32 v27, v27, 0, v19
	v_lshlrev_b64 v[56:57], v24, 1
	v_lshrrev_b64 v[19:20], v23, v[19:20]
	v_bfi_b32 v28, v28, 0, 0
	v_cmp_eq_u64_e64 s[18:19], v[27:28], v[56:57]
	v_mov_b32_e32 v28, v20
	v_mov_b32_e32 v27, v19
	s_and_saveexec_b64 s[78:79], s[18:19]
; %bb.647:                              ;   in Loop: Header=BB4_299 Depth=3
	v_bfe_u32 v20, v19, 20, 1
	v_add_co_u32_e64 v20, s[18:19], v19, v20
	v_add_co_u32_e64 v27, s[18:19], -1, v20
; %bb.648:                              ;   in Loop: Header=BB4_299 Depth=3
	s_or_b64 exec, exec, s[78:79]
	v_add_u32_e32 v20, 0xffffff81, v22
	v_cndmask_b32_e32 v20, v20, v54, vcc
	v_lshrrev_b32_e32 v22, 23, v19
	v_add3_u32 v24, v23, v20, v22
	v_add_u32_e32 v23, 6, v24
	v_and_b32_e32 v20, 0xfffff, v27
	v_add_u32_e32 v19, v20, v19
	v_mov_b32_e32 v20, v41
	v_cmp_ne_u32_e32 vcc, 0, v23
                                        ; implicit-def: $vgpr22
	s_and_saveexec_b64 s[18:19], vcc
	s_xor_b64 s[18:19], exec, s[18:19]
; %bb.649:                              ;   in Loop: Header=BB4_299 Depth=3
	v_cmp_lt_u64_e32 vcc, s[58:59], v[19:20]
	v_add_u32_e32 v22, 7, v24
	v_cndmask_b32_e32 v22, v23, v22, vcc
	v_cndmask_b32_e64 v23, 0, 1, vcc
	v_lshrrev_b64 v[19:20], v23, v[19:20]
; %bb.650:                              ;   in Loop: Header=BB4_299 Depth=3
	s_andn2_saveexec_b64 s[18:19], s[18:19]
; %bb.651:                              ;   in Loop: Header=BB4_299 Depth=3
	v_bfe_u32 v22, v19, 23, 1
; %bb.652:                              ;   in Loop: Header=BB4_299 Depth=3
	s_or_b64 exec, exec, s[18:19]
	v_lshrrev_b64 v[19:20], 20, v[19:20]
	v_cmp_gt_i32_e32 vcc, 16, v22
	v_cndmask_b32_e32 v20, 0, v20, vcc
	v_cndmask_b32_e32 v19, 7, v19, vcc
	v_cmp_eq_u64_e64 s[18:19], 0, v[19:20]
	v_min_i32_e32 v20, 15, v22
	v_lshlrev_b32_e32 v20, 3, v20
	v_cmp_eq_u32_e32 vcc, 0, v22
	v_and_b32_e32 v20, 0xf8, v20
	v_and_or_b32 v19, v19, 7, v20
	s_and_b64 s[18:19], vcc, s[18:19]
	v_cndmask_b32_e64 v19, v19, 0, s[18:19]
	v_or_b32_e32 v22, v19, v0
.LBB4_653:                              ;   in Loop: Header=BB4_299 Depth=3
	s_or_b64 exec, exec, s[76:77]
                                        ; implicit-def: $vgpr0
.LBB4_654:                              ;   in Loop: Header=BB4_299 Depth=3
	s_andn2_saveexec_b64 s[18:19], s[74:75]
; %bb.655:                              ;   in Loop: Header=BB4_299 Depth=3
	v_or_b32_e32 v22, 0x7e, v0
; %bb.656:                              ;   in Loop: Header=BB4_299 Depth=3
	s_or_b64 exec, exec, s[18:19]
                                        ; implicit-def: $vgpr19
.LBB4_657:                              ;   in Loop: Header=BB4_299 Depth=3
	s_andn2_saveexec_b64 s[18:19], s[72:73]
; %bb.658:                              ;   in Loop: Header=BB4_299 Depth=3
	v_or_b32_sdwa v22, v19, s37 dst_sel:DWORD dst_unused:UNUSED_PAD src0_sel:BYTE_3 src1_sel:DWORD
; %bb.659:                              ;   in Loop: Header=BB4_299 Depth=3
	s_or_b64 exec, exec, s[18:19]
	v_lshrrev_b32_e32 v0, 16, v21
	v_cmp_ne_u16_sdwa s[72:73], v0, v41 src0_sel:BYTE_0 src1_sel:DWORD
	v_mov_b32_e32 v19, 0
	v_mov_b32_e32 v20, 0
	s_and_saveexec_b64 s[18:19], s[72:73]
	s_cbranch_execz .LBB4_665
; %bb.660:                              ;   in Loop: Header=BB4_299 Depth=3
	v_cmp_ne_u16_sdwa s[74:75], v0, s36 src0_sel:BYTE_0 src1_sel:DWORD
	v_bfrev_b32_e32 v20, 1
	s_and_saveexec_b64 s[72:73], s[74:75]
	s_cbranch_execz .LBB4_664
; %bb.661:                              ;   in Loop: Header=BB4_299 Depth=3
	v_bfe_u32 v23, v21, 16, 7
	v_cmp_ne_u32_e32 vcc, s37, v23
	v_mov_b32_e32 v20, 0x7f800001
	s_and_saveexec_b64 s[74:75], vcc
	s_cbranch_execz .LBB4_663
; %bb.662:                              ;   in Loop: Header=BB4_299 Depth=3
	v_and_b32_e32 v20, 7, v0
	v_lshrrev_b32_e32 v27, 3, v23
	v_cmp_gt_u32_e32 vcc, 8, v23
	v_ffbh_u32_e32 v23, v20
	v_min_u32_e32 v28, 32, v23
	v_subrev_u32_e32 v23, 28, v28
	v_lshlrev_b64 v[23:24], v23, v[0:1]
	v_sub_u32_e32 v24, 29, v28
	v_and_b32_e32 v23, 7, v23
	v_cndmask_b32_e32 v24, v27, v24, vcc
	v_cndmask_b32_e32 v20, v20, v23, vcc
	v_lshlrev_b32_e32 v0, 24, v0
	v_lshlrev_b32_e32 v20, 20, v20
	v_and_b32_e32 v0, 0x80000000, v0
	v_lshl_add_u32 v23, v24, 23, v7
	v_or3_b32 v20, v0, v23, v20
.LBB4_663:                              ;   in Loop: Header=BB4_299 Depth=3
	s_or_b64 exec, exec, s[74:75]
.LBB4_664:                              ;   in Loop: Header=BB4_299 Depth=3
	s_or_b64 exec, exec, s[72:73]
.LBB4_665:                              ;   in Loop: Header=BB4_299 Depth=3
	s_or_b64 exec, exec, s[18:19]
	v_lshrrev_b32_e32 v0, 16, v40
	v_cmp_ne_u16_sdwa s[72:73], v0, v41 src0_sel:BYTE_0 src1_sel:DWORD
	s_and_saveexec_b64 s[18:19], s[72:73]
	s_cbranch_execz .LBB4_671
; %bb.666:                              ;   in Loop: Header=BB4_299 Depth=3
	v_cmp_ne_u16_sdwa s[74:75], v0, s36 src0_sel:BYTE_0 src1_sel:DWORD
	v_bfrev_b32_e32 v19, 1
	s_and_saveexec_b64 s[72:73], s[74:75]
	s_cbranch_execz .LBB4_670
; %bb.667:                              ;   in Loop: Header=BB4_299 Depth=3
	v_bfe_u32 v23, v40, 16, 7
	v_cmp_ne_u32_e32 vcc, s37, v23
	v_mov_b32_e32 v19, 0x7f800001
	s_and_saveexec_b64 s[74:75], vcc
	s_cbranch_execz .LBB4_669
; %bb.668:                              ;   in Loop: Header=BB4_299 Depth=3
	v_and_b32_e32 v19, 7, v0
	v_lshrrev_b32_e32 v27, 3, v23
	v_cmp_gt_u32_e32 vcc, 8, v23
	v_ffbh_u32_e32 v23, v19
	v_min_u32_e32 v28, 32, v23
	v_subrev_u32_e32 v23, 28, v28
	v_lshlrev_b64 v[23:24], v23, v[0:1]
	v_sub_u32_e32 v0, 29, v28
	v_and_b32_e32 v23, 7, v23
	v_cndmask_b32_e32 v0, v27, v0, vcc
	v_cndmask_b32_e32 v19, v19, v23, vcc
	v_lshlrev_b32_e32 v23, 8, v40
	v_lshlrev_b32_e32 v19, 20, v19
	v_and_b32_e32 v23, 0x80000000, v23
	v_lshl_add_u32 v0, v0, 23, v7
	v_or3_b32 v19, v23, v0, v19
.LBB4_669:                              ;   in Loop: Header=BB4_299 Depth=3
	s_or_b64 exec, exec, s[74:75]
.LBB4_670:                              ;   in Loop: Header=BB4_299 Depth=3
	s_or_b64 exec, exec, s[72:73]
.LBB4_671:                              ;   in Loop: Header=BB4_299 Depth=3
	s_or_b64 exec, exec, s[18:19]
	v_add_f32_e32 v19, v20, v19
	v_and_b32_e32 v23, 0x7f800000, v19
	v_mov_b32_e32 v24, v41
	v_cmp_ne_u64_e32 vcc, s[46:47], v[23:24]
                                        ; implicit-def: $vgpr27
	s_and_saveexec_b64 s[18:19], vcc
	s_xor_b64 s[72:73], exec, s[18:19]
	s_cbranch_execz .LBB4_685
; %bb.672:                              ;   in Loop: Header=BB4_299 Depth=3
	v_and_b32_e32 v23, 0x7fffffff, v19
	v_mov_b32_e32 v24, v41
	v_cmp_gt_u64_e32 vcc, s[56:57], v[23:24]
	v_and_b32_sdwa v0, v19, s36 dst_sel:DWORD dst_unused:UNUSED_PAD src0_sel:BYTE_3 src1_sel:DWORD
                                        ; implicit-def: $vgpr27
	s_and_saveexec_b64 s[18:19], vcc
	s_xor_b64 s[74:75], exec, s[18:19]
	s_cbranch_execz .LBB4_682
; %bb.673:                              ;   in Loop: Header=BB4_299 Depth=3
	v_mov_b32_e32 v27, 0
	v_cmp_ne_u32_e32 vcc, 0, v19
	s_and_saveexec_b64 s[76:77], vcc
	s_cbranch_execz .LBB4_681
; %bb.674:                              ;   in Loop: Header=BB4_299 Depth=3
	v_bfe_u32 v31, v19, 23, 8
	v_and_b32_e32 v20, 0x7fffff, v19
	v_cmp_gt_u32_e64 s[18:19], s38, v31
	v_sub_u32_e32 v19, 0x79, v31
	v_cmp_eq_u32_e32 vcc, 0, v31
	v_cndmask_b32_e64 v19, 0, v19, s[18:19]
	v_or_b32_e32 v24, 0x800000, v20
	v_cndmask_b32_e32 v23, v19, v8, vcc
	v_cndmask_b32_e32 v19, v24, v20, vcc
	v_add_u32_e32 v24, 20, v23
	v_lshlrev_b64 v[27:28], v24, -1
	v_mov_b32_e32 v20, v41
	v_add_u32_e32 v24, 19, v23
	v_bfi_b32 v27, v27, 0, v19
	v_lshlrev_b64 v[56:57], v24, 1
	v_lshrrev_b64 v[19:20], v23, v[19:20]
	v_bfi_b32 v28, v28, 0, 0
	v_cmp_eq_u64_e64 s[18:19], v[27:28], v[56:57]
	v_mov_b32_e32 v28, v20
	v_mov_b32_e32 v27, v19
	s_and_saveexec_b64 s[78:79], s[18:19]
; %bb.675:                              ;   in Loop: Header=BB4_299 Depth=3
	v_bfe_u32 v20, v19, 20, 1
	v_add_co_u32_e64 v20, s[18:19], v19, v20
	v_add_co_u32_e64 v27, s[18:19], -1, v20
; %bb.676:                              ;   in Loop: Header=BB4_299 Depth=3
	s_or_b64 exec, exec, s[78:79]
	v_add_u32_e32 v20, 0xffffff81, v31
	v_cndmask_b32_e32 v20, v20, v54, vcc
	v_lshrrev_b32_e32 v24, 23, v19
	v_add3_u32 v24, v23, v20, v24
	v_add_u32_e32 v23, 6, v24
	v_and_b32_e32 v20, 0xfffff, v27
	v_add_u32_e32 v19, v20, v19
	v_mov_b32_e32 v20, v41
	v_cmp_ne_u32_e32 vcc, 0, v23
                                        ; implicit-def: $vgpr27
	s_and_saveexec_b64 s[18:19], vcc
	s_xor_b64 s[18:19], exec, s[18:19]
; %bb.677:                              ;   in Loop: Header=BB4_299 Depth=3
	v_cmp_lt_u64_e32 vcc, s[58:59], v[19:20]
	v_add_u32_e32 v24, 7, v24
	v_cndmask_b32_e32 v27, v23, v24, vcc
	v_cndmask_b32_e64 v23, 0, 1, vcc
	v_lshrrev_b64 v[19:20], v23, v[19:20]
; %bb.678:                              ;   in Loop: Header=BB4_299 Depth=3
	s_andn2_saveexec_b64 s[18:19], s[18:19]
; %bb.679:                              ;   in Loop: Header=BB4_299 Depth=3
	v_bfe_u32 v27, v19, 23, 1
; %bb.680:                              ;   in Loop: Header=BB4_299 Depth=3
	s_or_b64 exec, exec, s[18:19]
	v_lshrrev_b64 v[19:20], 20, v[19:20]
	v_cmp_gt_i32_e32 vcc, 16, v27
	v_cndmask_b32_e32 v20, 0, v20, vcc
	v_cndmask_b32_e32 v19, 7, v19, vcc
	v_cmp_eq_u64_e64 s[18:19], 0, v[19:20]
	v_min_i32_e32 v20, 15, v27
	v_lshlrev_b32_e32 v20, 3, v20
	v_cmp_eq_u32_e32 vcc, 0, v27
	v_and_b32_e32 v20, 0xf8, v20
	v_and_or_b32 v19, v19, 7, v20
	s_and_b64 s[18:19], vcc, s[18:19]
	v_cndmask_b32_e64 v19, v19, 0, s[18:19]
	v_or_b32_e32 v27, v19, v0
.LBB4_681:                              ;   in Loop: Header=BB4_299 Depth=3
	s_or_b64 exec, exec, s[76:77]
                                        ; implicit-def: $vgpr0
.LBB4_682:                              ;   in Loop: Header=BB4_299 Depth=3
	s_andn2_saveexec_b64 s[18:19], s[74:75]
; %bb.683:                              ;   in Loop: Header=BB4_299 Depth=3
	v_or_b32_e32 v27, 0x7e, v0
; %bb.684:                              ;   in Loop: Header=BB4_299 Depth=3
	s_or_b64 exec, exec, s[18:19]
                                        ; implicit-def: $vgpr19
.LBB4_685:                              ;   in Loop: Header=BB4_299 Depth=3
	s_andn2_saveexec_b64 s[18:19], s[72:73]
; %bb.686:                              ;   in Loop: Header=BB4_299 Depth=3
	v_or_b32_sdwa v27, v19, s37 dst_sel:DWORD dst_unused:UNUSED_PAD src0_sel:BYTE_3 src1_sel:DWORD
; %bb.687:                              ;   in Loop: Header=BB4_299 Depth=3
	s_or_b64 exec, exec, s[18:19]
	v_and_b32_e32 v19, 0xff000000, v21
	v_mov_b32_e32 v20, v41
	v_cmp_ne_u64_e32 vcc, 0, v[19:20]
	v_mov_b32_e32 v19, 0
	v_mov_b32_e32 v20, 0
	s_and_saveexec_b64 s[18:19], vcc
	s_cbranch_execz .LBB4_693
; %bb.688:                              ;   in Loop: Header=BB4_299 Depth=3
	v_lshrrev_b32_e32 v0, 24, v21
	v_cmp_ne_u32_e32 vcc, s36, v0
	v_bfrev_b32_e32 v20, 1
	s_and_saveexec_b64 s[72:73], vcc
	s_cbranch_execz .LBB4_692
; %bb.689:                              ;   in Loop: Header=BB4_299 Depth=3
	v_bfe_u32 v21, v21, 24, 7
	v_cmp_ne_u32_e32 vcc, s37, v21
	v_mov_b32_e32 v20, 0x7f800001
	s_and_saveexec_b64 s[74:75], vcc
	s_cbranch_execz .LBB4_691
; %bb.690:                              ;   in Loop: Header=BB4_299 Depth=3
	v_and_b32_e32 v23, 7, v0
	v_ffbh_u32_e32 v20, v23
	v_min_u32_e32 v28, 32, v20
	v_subrev_u32_e32 v20, 28, v28
	v_lshrrev_b32_e32 v24, 3, v21
	v_cmp_gt_u32_e32 vcc, 8, v21
	v_lshlrev_b64 v[20:21], v20, v[0:1]
	v_sub_u32_e32 v21, 29, v28
	v_and_b32_e32 v20, 7, v20
	v_cndmask_b32_e32 v21, v24, v21, vcc
	v_cndmask_b32_e32 v20, v23, v20, vcc
	v_lshlrev_b32_e32 v0, 24, v0
	v_lshlrev_b32_e32 v20, 20, v20
	v_and_b32_e32 v0, 0x80000000, v0
	v_lshl_add_u32 v21, v21, 23, v7
	v_or3_b32 v20, v0, v21, v20
.LBB4_691:                              ;   in Loop: Header=BB4_299 Depth=3
	s_or_b64 exec, exec, s[74:75]
.LBB4_692:                              ;   in Loop: Header=BB4_299 Depth=3
	s_or_b64 exec, exec, s[72:73]
.LBB4_693:                              ;   in Loop: Header=BB4_299 Depth=3
	s_or_b64 exec, exec, s[18:19]
	v_cmp_lt_u32_e32 vcc, s39, v40
	s_and_saveexec_b64 s[18:19], vcc
	s_cbranch_execz .LBB4_699
; %bb.694:                              ;   in Loop: Header=BB4_299 Depth=3
	v_lshrrev_b32_e32 v0, 24, v40
	v_cmp_ne_u32_sdwa s[74:75], v40, s36 src0_sel:BYTE_3 src1_sel:DWORD
	v_bfrev_b32_e32 v19, 1
	s_and_saveexec_b64 s[72:73], s[74:75]
	s_cbranch_execz .LBB4_698
; %bb.695:                              ;   in Loop: Header=BB4_299 Depth=3
	v_bfe_u32 v21, v40, 24, 7
	v_cmp_ne_u32_e32 vcc, s37, v21
	v_mov_b32_e32 v19, 0x7f800001
	s_and_saveexec_b64 s[74:75], vcc
	s_cbranch_execz .LBB4_697
; %bb.696:                              ;   in Loop: Header=BB4_299 Depth=3
	v_and_b32_e32 v19, 7, v0
	v_lshrrev_b32_e32 v28, 3, v21
	v_cmp_gt_u32_e32 vcc, 8, v21
	v_ffbh_u32_e32 v21, v19
	v_min_u32_e32 v21, 32, v21
	v_subrev_u32_e32 v23, 28, v21
	v_lshlrev_b64 v[23:24], v23, v[0:1]
	v_sub_u32_e32 v0, 29, v21
	v_and_b32_e32 v21, 7, v23
	v_cndmask_b32_e32 v0, v28, v0, vcc
	v_cndmask_b32_e32 v19, v19, v21, vcc
	v_lshlrev_b32_sdwa v21, v55, v40 dst_sel:DWORD dst_unused:UNUSED_PAD src0_sel:DWORD src1_sel:BYTE_3
	v_lshlrev_b32_e32 v19, 20, v19
	v_and_b32_e32 v21, 0x80000000, v21
	v_lshl_add_u32 v0, v0, 23, v7
	v_or3_b32 v19, v21, v0, v19
.LBB4_697:                              ;   in Loop: Header=BB4_299 Depth=3
	s_or_b64 exec, exec, s[74:75]
.LBB4_698:                              ;   in Loop: Header=BB4_299 Depth=3
	s_or_b64 exec, exec, s[72:73]
.LBB4_699:                              ;   in Loop: Header=BB4_299 Depth=3
	s_or_b64 exec, exec, s[18:19]
	v_add_f32_e32 v20, v20, v19
	v_and_b32_e32 v40, 0x7f800000, v20
	v_cmp_ne_u64_e32 vcc, s[46:47], v[40:41]
                                        ; implicit-def: $vgpr19
	s_and_saveexec_b64 s[18:19], vcc
	s_xor_b64 s[72:73], exec, s[18:19]
	s_cbranch_execz .LBB4_713
; %bb.700:                              ;   in Loop: Header=BB4_299 Depth=3
	v_and_b32_e32 v40, 0x7fffffff, v20
	v_cmp_gt_u64_e32 vcc, s[56:57], v[40:41]
	v_and_b32_sdwa v0, v20, s36 dst_sel:DWORD dst_unused:UNUSED_PAD src0_sel:BYTE_3 src1_sel:DWORD
                                        ; implicit-def: $vgpr19
	s_and_saveexec_b64 s[18:19], vcc
	s_xor_b64 s[74:75], exec, s[18:19]
	s_cbranch_execz .LBB4_710
; %bb.701:                              ;   in Loop: Header=BB4_299 Depth=3
	v_mov_b32_e32 v19, 0
	v_cmp_ne_u32_e32 vcc, 0, v20
	s_and_saveexec_b64 s[76:77], vcc
	s_cbranch_execz .LBB4_709
; %bb.702:                              ;   in Loop: Header=BB4_299 Depth=3
	v_bfe_u32 v28, v20, 23, 8
	v_and_b32_e32 v19, 0x7fffff, v20
	v_cmp_gt_u32_e64 s[18:19], s38, v28
	v_sub_u32_e32 v20, 0x79, v28
	v_cmp_eq_u32_e32 vcc, 0, v28
	v_cndmask_b32_e64 v20, 0, v20, s[18:19]
	v_or_b32_e32 v21, 0x800000, v19
	v_cndmask_b32_e32 v23, v20, v8, vcc
	v_cndmask_b32_e32 v40, v21, v19, vcc
	v_add_u32_e32 v19, 20, v23
	v_lshlrev_b64 v[19:20], v19, -1
	v_add_u32_e32 v21, 19, v23
	v_lshlrev_b64 v[56:57], v21, 1
	v_bfi_b32 v20, v20, 0, 0
	v_bfi_b32 v19, v19, 0, v40
	v_cmp_eq_u64_e64 s[18:19], v[19:20], v[56:57]
	v_lshrrev_b64 v[19:20], v23, v[40:41]
	v_mov_b32_e32 v21, v20
	v_mov_b32_e32 v20, v19
	s_and_saveexec_b64 s[78:79], s[18:19]
; %bb.703:                              ;   in Loop: Header=BB4_299 Depth=3
	v_bfe_u32 v20, v19, 20, 1
	v_add_co_u32_e64 v20, s[18:19], v19, v20
	v_add_co_u32_e64 v20, s[18:19], -1, v20
; %bb.704:                              ;   in Loop: Header=BB4_299 Depth=3
	s_or_b64 exec, exec, s[78:79]
	v_add_u32_e32 v21, 0xffffff81, v28
	v_cndmask_b32_e32 v21, v21, v54, vcc
	v_lshrrev_b32_e32 v24, 23, v19
	v_add3_u32 v24, v23, v21, v24
	v_add_u32_e32 v23, 6, v24
	v_and_b32_e32 v20, 0xfffff, v20
	v_add_u32_e32 v40, v20, v19
	v_cmp_ne_u32_e32 vcc, 0, v23
                                        ; implicit-def: $vgpr19_vgpr20
                                        ; implicit-def: $vgpr21
	s_and_saveexec_b64 s[18:19], vcc
	s_xor_b64 s[18:19], exec, s[18:19]
; %bb.705:                              ;   in Loop: Header=BB4_299 Depth=3
	v_cmp_lt_u64_e32 vcc, s[58:59], v[40:41]
	v_add_u32_e32 v19, 7, v24
	v_cndmask_b32_e32 v21, v23, v19, vcc
	v_cndmask_b32_e64 v19, 0, 1, vcc
	v_lshrrev_b64 v[19:20], v19, v[40:41]
; %bb.706:                              ;   in Loop: Header=BB4_299 Depth=3
	s_andn2_saveexec_b64 s[18:19], s[18:19]
; %bb.707:                              ;   in Loop: Header=BB4_299 Depth=3
	v_mov_b32_e32 v19, v40
	v_bfe_u32 v21, v40, 23, 1
	v_mov_b32_e32 v20, v41
; %bb.708:                              ;   in Loop: Header=BB4_299 Depth=3
	s_or_b64 exec, exec, s[18:19]
	v_lshrrev_b64 v[19:20], 20, v[19:20]
	v_cmp_gt_i32_e32 vcc, 16, v21
	v_cndmask_b32_e32 v20, 0, v20, vcc
	v_cndmask_b32_e32 v19, 7, v19, vcc
	v_cmp_eq_u64_e64 s[18:19], 0, v[19:20]
	v_min_i32_e32 v20, 15, v21
	v_lshlrev_b32_e32 v20, 3, v20
	v_cmp_eq_u32_e32 vcc, 0, v21
	v_and_b32_e32 v20, 0xf8, v20
	v_and_or_b32 v19, v19, 7, v20
	s_and_b64 s[18:19], vcc, s[18:19]
	v_cndmask_b32_e64 v19, v19, 0, s[18:19]
	v_or_b32_e32 v19, v19, v0
.LBB4_709:                              ;   in Loop: Header=BB4_299 Depth=3
	s_or_b64 exec, exec, s[76:77]
                                        ; implicit-def: $vgpr0
.LBB4_710:                              ;   in Loop: Header=BB4_299 Depth=3
	s_andn2_saveexec_b64 s[18:19], s[74:75]
; %bb.711:                              ;   in Loop: Header=BB4_299 Depth=3
	v_or_b32_e32 v19, 0x7e, v0
; %bb.712:                              ;   in Loop: Header=BB4_299 Depth=3
	s_or_b64 exec, exec, s[18:19]
                                        ; implicit-def: $vgpr20
.LBB4_713:                              ;   in Loop: Header=BB4_299 Depth=3
	s_andn2_saveexec_b64 s[18:19], s[72:73]
	s_cbranch_execz .LBB4_298
; %bb.714:                              ;   in Loop: Header=BB4_299 Depth=3
	v_or_b32_sdwa v19, v20, s37 dst_sel:DWORD dst_unused:UNUSED_PAD src0_sel:BYTE_3 src1_sel:DWORD
	s_branch .LBB4_298
.LBB4_715:                              ;   in Loop: Header=BB4_255 Depth=2
	s_or_b64 exec, exec, s[62:63]
	v_mov_b32_e32 v61, v37
	v_mov_b32_e32 v60, v36
	s_or_b64 exec, exec, s[60:61]
	s_and_saveexec_b64 s[18:19], s[10:11]
	s_cbranch_execz .LBB4_292
.LBB4_716:                              ;   in Loop: Header=BB4_255 Depth=2
	s_and_saveexec_b64 s[60:61], s[40:41]
	s_xor_b64 s[60:61], exec, s[60:61]
	s_cbranch_execz .LBB4_731
; %bb.717:                              ;   in Loop: Header=BB4_255 Depth=2
	s_and_saveexec_b64 s[62:63], s[12:13]
	s_cbranch_execz .LBB4_730
; %bb.718:                              ;   in Loop: Header=BB4_255 Depth=2
	s_mov_b64 s[74:75], exec
	s_waitcnt vmcnt(0) lgkmcnt(0)
	v_mbcnt_lo_u32_b32 v0, s74, 0
	v_mbcnt_hi_u32_b32 v0, s75, v0
	v_cmp_eq_u32_e32 vcc, 0, v0
	buffer_wbinvl1_vol
	s_and_saveexec_b64 s[72:73], vcc
	s_cbranch_execz .LBB4_720
; %bb.719:                              ;   in Loop: Header=BB4_255 Depth=2
	s_bcnt1_i32_b64 s26, s[74:75]
	v_mov_b32_e32 v40, s26
	ds_add_u64 v0, v[40:41]
	s_trap 2
.LBB4_720:                              ;   in Loop: Header=BB4_255 Depth=2
	s_or_b64 exec, exec, s[72:73]
	s_trap 2
	ds_read_b64 v[9:10], v0
	s_waitcnt lgkmcnt(0)
	buffer_load_dword v0, off, s[0:3], s32 offset:116 ; 4-byte Folded Reload
	s_waitcnt vmcnt(0)
	v_add_co_u32_e32 v2, vcc, v2, v0
	v_addc_co_u32_e32 v3, vcc, 0, v3, vcc
	v_cmp_lt_u64_e32 vcc, v[9:10], v[2:3]
	s_and_saveexec_b64 s[72:73], vcc
	s_cbranch_execz .LBB4_729
; %bb.721:                              ;   in Loop: Header=BB4_255 Depth=2
	s_mov_b32 s26, 0
	s_mov_b64 s[74:75], 0
                                        ; implicit-def: $sgpr76_sgpr77
                                        ; implicit-def: $sgpr78_sgpr79
	s_branch .LBB4_723
.LBB4_722:                              ;   in Loop: Header=BB4_723 Depth=3
	s_or_b64 exec, exec, s[90:91]
	s_and_b64 s[88:89], exec, s[92:93]
	s_or_b64 s[74:75], s[88:89], s[74:75]
	s_andn2_b64 s[76:77], s[76:77], exec
	s_and_b64 s[88:89], s[78:79], exec
	s_or_b64 s[76:77], s[76:77], s[88:89]
	s_andn2_b64 exec, exec, s[74:75]
	s_cbranch_execz .LBB4_727
.LBB4_723:                              ;   Parent Loop BB4_30 Depth=1
                                        ;     Parent Loop BB4_255 Depth=2
                                        ; =>    This Inner Loop Header: Depth=3
	s_add_i32 s26, s26, 1
	s_cmpk_lg_i32 s26, 0x2710
	s_cselect_b64 s[88:89], -1, 0
	s_and_b64 vcc, exec, s[88:89]
	s_cbranch_vccz .LBB4_725
; %bb.724:                              ;   in Loop: Header=BB4_723 Depth=3
	s_mov_b64 s[92:93], -1
	s_or_b64 s[78:79], s[78:79], exec
	s_and_saveexec_b64 s[90:91], s[88:89]
	s_cbranch_execz .LBB4_722
	s_branch .LBB4_726
.LBB4_725:                              ;   in Loop: Header=BB4_723 Depth=3
	s_trap 2
	ds_read_b64 v[9:10], v0
	s_andn2_b64 s[88:89], s[88:89], exec
	s_mov_b32 s26, 0
	s_waitcnt lgkmcnt(0)
	flat_load_dword v0, v[9:10] glc
	s_waitcnt vmcnt(0) lgkmcnt(0)
	buffer_wbinvl1_vol
	v_cmp_eq_u32_e32 vcc, 0, v0
	s_and_b64 s[90:91], vcc, exec
	s_or_b64 s[88:89], s[88:89], s[90:91]
	s_mov_b64 s[92:93], -1
	s_or_b64 s[78:79], s[78:79], exec
	s_and_saveexec_b64 s[90:91], s[88:89]
	s_cbranch_execz .LBB4_722
.LBB4_726:                              ;   in Loop: Header=BB4_723 Depth=3
	s_sleep 1
	s_trap 2
	ds_read_b64 v[9:10], v0
	s_waitcnt lgkmcnt(0)
	s_andn2_b64 s[78:79], s[78:79], exec
	v_cmp_ge_u64_e32 vcc, v[9:10], v[2:3]
	s_orn2_b64 s[92:93], vcc, exec
	s_branch .LBB4_722
.LBB4_727:                              ;   in Loop: Header=BB4_255 Depth=2
	s_or_b64 exec, exec, s[74:75]
	s_and_saveexec_b64 s[74:75], s[76:77]
	s_xor_b64 s[74:75], exec, s[74:75]
	s_cbranch_execz .LBB4_729
; %bb.728:                              ;   in Loop: Header=BB4_255 Depth=2
	v_mov_b32_e32 v0, 1
	ds_write_b32 v0, v0
	s_trap 2
.LBB4_729:                              ;   in Loop: Header=BB4_255 Depth=2
	s_or_b64 exec, exec, s[72:73]
	;;#ASMSTART
	s_wakeup
	;;#ASMEND
.LBB4_730:                              ;   in Loop: Header=BB4_255 Depth=2
	s_or_b64 exec, exec, s[62:63]
.LBB4_731:                              ;   in Loop: Header=BB4_255 Depth=2
	s_andn2_saveexec_b64 s[60:61], s[60:61]
	s_cbranch_execz .LBB4_733
; %bb.732:                              ;   in Loop: Header=BB4_255 Depth=2
	s_waitcnt vmcnt(0) lgkmcnt(0)
	buffer_wbinvl1_vol
	s_barrier
.LBB4_733:                              ;   in Loop: Header=BB4_255 Depth=2
	s_or_b64 exec, exec, s[60:61]
	s_or_b64 exec, exec, s[18:19]
	s_and_saveexec_b64 s[18:19], s[14:15]
	s_cbranch_execnz .LBB4_293
	s_branch .LBB4_294
.LBB4_734:                              ;   in Loop: Header=BB4_30 Depth=1
	v_mov_b32_e32 v21, v46
	v_mov_b32_e32 v22, v47
	s_and_saveexec_b64 s[18:19], s[16:17]
	s_cbranch_execnz .LBB4_736
	s_branch .LBB4_1173
.LBB4_735:                              ;   in Loop: Header=BB4_30 Depth=1
	buffer_load_dword v23, off, s[0:3], s32 offset:180 ; 4-byte Folded Reload
	buffer_load_dword v24, off, s[0:3], s32 offset:184 ; 4-byte Folded Reload
	v_mov_b32_e32 v21, v46
	v_mov_b32_e32 v22, v47
	s_and_saveexec_b64 s[18:19], s[16:17]
	s_cbranch_execz .LBB4_1173
.LBB4_736:                              ;   in Loop: Header=BB4_30 Depth=1
	s_waitcnt lgkmcnt(0)
	flat_load_dword v0, v[60:61]
	buffer_load_dword v17, off, s[0:3], s32 offset:188 ; 4-byte Folded Reload
	buffer_load_dword v18, off, s[0:3], s32 offset:192 ; 4-byte Folded Reload
	;; [unrolled: 1-line block ×6, first 2 shown]
	v_add_u32_e32 v59, 1, v34
	s_mov_b64 s[60:61], 0
	s_waitcnt vmcnt(0) lgkmcnt(0)
	v_ashrrev_i32_e32 v4, 31, v0
	v_mov_b32_e32 v9, v19
	v_mov_b32_e32 v10, v20
	v_add_co_u32_e32 v9, vcc, v9, v23
	v_addc_co_u32_e32 v10, vcc, v10, v24, vcc
	v_mul_lo_u32 v11, v11, v0
	v_mul_lo_u32 v4, v17, v4
	v_mad_u64_u32 v[9:10], s[16:17], v17, v0, v[9:10]
	v_add3_u32 v0, v11, v10, v4
	buffer_load_dword v4, off, s[0:3], s32 offset:136 ; 4-byte Folded Reload
	s_waitcnt vmcnt(0)
	v_add_co_u32_e32 v49, vcc, v9, v4
	v_addc_co_u32_e32 v42, vcc, 0, v0, vcc
	buffer_load_dword v0, off, s[0:3], s32 offset:212 ; 4-byte Folded Reload
	s_waitcnt vmcnt(0)
	v_add_co_u32_e32 v46, vcc, v0, v23
	buffer_load_dword v0, off, s[0:3], s32 offset:216 ; 4-byte Folded Reload
	buffer_load_dword v17, off, s[0:3], s32 offset:96 ; 4-byte Folded Reload
	;; [unrolled: 1-line block ×5, first 2 shown]
	s_waitcnt vmcnt(4)
	v_addc_co_u32_e32 v47, vcc, v0, v24, vcc
	v_and_b32_e32 v0, 7, v34
	v_mul_lo_u32 v9, v0, s34
	v_ashrrev_i32_e32 v10, 31, v9
	v_lshlrev_b64 v[9:10], 4, v[9:10]
	s_waitcnt vmcnt(3)
	v_add_co_u32_e32 v43, vcc, v17, v9
	s_waitcnt vmcnt(2)
	v_addc_co_u32_e32 v58, vcc, v18, v10, vcc
	s_branch .LBB4_738
.LBB4_737:                              ;   in Loop: Header=BB4_738 Depth=2
	v_add_co_u32_e32 v49, vcc, v49, v25
	v_addc_co_u32_e32 v42, vcc, 0, v42, vcc
	v_add_co_u32_e32 v46, vcc, v46, v25
	v_addc_co_u32_e32 v47, vcc, 0, v47, vcc
	v_sub_u32_e32 v48, v48, v25
	v_cmp_gt_i32_e32 vcc, 1, v48
	s_or_b64 s[60:61], vcc, s[60:61]
	v_add_u32_e32 v56, v56, v1
	s_andn2_b64 exec, exec, s[60:61]
	s_cbranch_execz .LBB4_1172
.LBB4_738:                              ;   Parent Loop BB4_30 Depth=1
                                        ; =>  This Loop Header: Depth=2
                                        ;       Child Loop BB4_746 Depth 3
	v_and_b32_e32 v17, -4, v49
	v_mov_b32_e32 v18, v42
	global_load_dword v0, v[17:18], off glc slc
	v_min_u32_e32 v4, 8, v48
	v_and_b32_e32 v9, 3, v49
	v_add_u32_e32 v40, v9, v4
	v_cmp_lt_u32_e32 vcc, 4, v40
	v_mov_b32_e32 v10, 0
	v_mov_b32_e32 v26, 0
	s_and_saveexec_b64 s[16:17], vcc
	s_cbranch_execz .LBB4_740
; %bb.739:                              ;   in Loop: Header=BB4_738 Depth=2
	global_load_dword v26, v[17:18], off offset:4 glc slc
.LBB4_740:                              ;   in Loop: Header=BB4_738 Depth=2
	s_or_b64 exec, exec, s[16:17]
	v_cmp_lt_u64_e32 vcc, 8, v[40:41]
	s_and_saveexec_b64 s[16:17], vcc
	s_cbranch_execz .LBB4_742
; %bb.741:                              ;   in Loop: Header=BB4_738 Depth=2
	global_load_dword v10, v[17:18], off offset:8 glc slc
.LBB4_742:                              ;   in Loop: Header=BB4_738 Depth=2
	s_or_b64 exec, exec, s[16:17]
	s_waitcnt vmcnt(0)
	v_mov_b32_e32 v57, v41
	v_lshlrev_b64 v[17:18], 4, v[56:57]
	v_add_co_u32_e32 v29, vcc, v43, v17
	v_addc_co_u32_e32 v30, vcc, v58, v18, vcc
	global_load_dwordx4 v[17:20], v[29:30], off glc slc
	v_cmp_eq_u32_e32 vcc, 0, v12
	v_mov_b32_e32 v12, 1
	s_and_saveexec_b64 s[62:63], vcc
	s_cbranch_execz .LBB4_754
; %bb.743:                              ;   in Loop: Header=BB4_738 Depth=2
	s_waitcnt vmcnt(0)
	v_cmp_ne_u32_e32 vcc, v59, v18
	v_cmp_ne_u32_e64 s[16:17], v59, v20
	s_or_b64 s[16:17], vcc, s[16:17]
	v_mov_b32_e32 v12, 0
	s_and_saveexec_b64 s[72:73], s[16:17]
	s_cbranch_execz .LBB4_753
; %bb.744:                              ;   in Loop: Header=BB4_738 Depth=2
	s_mov_b32 s26, 1
	s_mov_b64 s[76:77], 0
                                        ; implicit-def: $sgpr74_sgpr75
                                        ; implicit-def: $sgpr78_sgpr79
	s_branch .LBB4_746
.LBB4_745:                              ;   in Loop: Header=BB4_746 Depth=3
	s_or_b64 exec, exec, s[90:91]
	s_and_b64 s[16:17], exec, s[16:17]
	s_or_b64 s[76:77], s[16:17], s[76:77]
	s_andn2_b64 s[16:17], s[74:75], exec
	s_and_b64 s[74:75], s[78:79], exec
	s_or_b64 s[74:75], s[16:17], s[74:75]
	s_andn2_b64 exec, exec, s[76:77]
	s_cbranch_execz .LBB4_750
.LBB4_746:                              ;   Parent Loop BB4_30 Depth=1
                                        ;     Parent Loop BB4_738 Depth=2
                                        ; =>    This Inner Loop Header: Depth=3
	global_load_dwordx4 v[17:20], v[29:30], off glc slc
	s_add_i32 s26, s26, 1
	s_mov_b64 s[16:17], -1
	s_cmpk_lg_i32 s26, 0x2710
	s_mov_b64 s[88:89], -1
                                        ; implicit-def: $vgpr4
	s_cbranch_scc0 .LBB4_748
; %bb.747:                              ;   in Loop: Header=BB4_746 Depth=3
	s_or_b64 s[78:79], s[78:79], exec
	s_and_saveexec_b64 s[90:91], s[88:89]
	s_cbranch_execz .LBB4_745
	s_branch .LBB4_749
.LBB4_748:                              ;   in Loop: Header=BB4_746 Depth=3
	s_trap 2
	ds_read_b64 v[11:12], v0
	s_mov_b32 s26, 0
	s_waitcnt vmcnt(0) lgkmcnt(0)
	flat_load_dword v4, v[11:12] glc
	s_waitcnt vmcnt(0) lgkmcnt(0)
	buffer_wbinvl1_vol
	v_cmp_eq_u32_e32 vcc, 0, v4
	s_orn2_b64 s[88:89], vcc, exec
	s_or_b64 s[78:79], s[78:79], exec
	s_and_saveexec_b64 s[90:91], s[88:89]
	s_cbranch_execz .LBB4_745
.LBB4_749:                              ;   in Loop: Header=BB4_746 Depth=3
	s_waitcnt vmcnt(0)
	v_cmp_eq_u32_e32 vcc, v59, v18
	v_cmp_eq_u32_e64 s[16:17], v59, v20
	s_and_b64 s[16:17], vcc, s[16:17]
	s_andn2_b64 s[78:79], s[78:79], exec
	s_orn2_b64 s[16:17], s[16:17], exec
	s_branch .LBB4_745
.LBB4_750:                              ;   in Loop: Header=BB4_738 Depth=2
	s_or_b64 exec, exec, s[76:77]
	v_mov_b32_e32 v12, 0
	s_and_saveexec_b64 s[16:17], s[74:75]
	s_xor_b64 s[16:17], exec, s[16:17]
	s_cbranch_execz .LBB4_752
; %bb.751:                              ;   in Loop: Header=BB4_738 Depth=2
	v_mov_b32_e32 v12, 1
	ds_write_b32 v0, v4
	s_trap 2
.LBB4_752:                              ;   in Loop: Header=BB4_738 Depth=2
	s_or_b64 exec, exec, s[16:17]
.LBB4_753:                              ;   in Loop: Header=BB4_738 Depth=2
	s_or_b64 exec, exec, s[72:73]
.LBB4_754:                              ;   in Loop: Header=BB4_738 Depth=2
	s_or_b64 exec, exec, s[62:63]
	v_lshlrev_b32_e32 v4, 3, v49
	s_waitcnt vmcnt(0)
	v_alignbit_b32 v40, v26, v0, v4
	v_cmp_ne_u16_sdwa s[62:63], v40, v41 src0_sel:BYTE_0 src1_sel:DWORD
	v_mov_b32_e32 v0, 0
	s_and_saveexec_b64 s[16:17], s[62:63]
	s_cbranch_execz .LBB4_760
; %bb.755:                              ;   in Loop: Header=BB4_738 Depth=2
	v_cmp_ne_u16_sdwa s[72:73], v40, s36 src0_sel:BYTE_0 src1_sel:DWORD
	v_bfrev_b32_e32 v0, 1
	s_and_saveexec_b64 s[62:63], s[72:73]
	s_cbranch_execz .LBB4_759
; %bb.756:                              ;   in Loop: Header=BB4_738 Depth=2
	v_and_b32_e32 v9, 0x7f, v40
	v_cmp_ne_u32_e32 vcc, s37, v9
	v_mov_b32_e32 v0, 0x7f800001
	s_and_saveexec_b64 s[72:73], vcc
	s_cbranch_execz .LBB4_758
; %bb.757:                              ;   in Loop: Header=BB4_738 Depth=2
	v_and_b32_e32 v0, 7, v40
	v_ffbh_u32_e32 v0, v0
	v_min_u32_e32 v0, 32, v0
	v_lshrrev_b32_e32 v11, 3, v9
	v_cmp_gt_u32_e32 vcc, 8, v9
	v_subrev_u32_e32 v9, 28, v0
	v_cndmask_b32_e32 v9, 0, v9, vcc
	v_lshlrev_b64 v[23:24], v9, v[40:41]
	v_sub_u32_e32 v0, 29, v0
	v_cndmask_b32_e32 v0, v11, v0, vcc
	v_lshlrev_b32_e32 v9, 20, v23
	v_lshlrev_b32_e32 v11, 24, v40
	v_and_b32_e32 v9, 0x700000, v9
	v_and_b32_e32 v11, 0x80000000, v11
	v_lshl_add_u32 v0, v0, 23, v7
	v_or3_b32 v0, v11, v0, v9
.LBB4_758:                              ;   in Loop: Header=BB4_738 Depth=2
	s_or_b64 exec, exec, s[72:73]
.LBB4_759:                              ;   in Loop: Header=BB4_738 Depth=2
	s_or_b64 exec, exec, s[62:63]
.LBB4_760:                              ;   in Loop: Header=BB4_738 Depth=2
	s_or_b64 exec, exec, s[16:17]
	v_mul_f32_e32 v11, v62, v0
	v_and_b32_e32 v23, 0x7f800000, v11
	v_mov_b32_e32 v24, v41
	v_cmp_ne_u64_e32 vcc, s[46:47], v[23:24]
                                        ; implicit-def: $vgpr9
	s_and_saveexec_b64 s[16:17], vcc
	s_xor_b64 s[62:63], exec, s[16:17]
	s_cbranch_execz .LBB4_774
; %bb.761:                              ;   in Loop: Header=BB4_738 Depth=2
	v_and_b32_e32 v23, 0x7fffffff, v11
	v_mov_b32_e32 v24, v41
	v_cmp_gt_u64_e32 vcc, s[56:57], v[23:24]
	v_and_b32_sdwa v0, v11, s36 dst_sel:DWORD dst_unused:UNUSED_PAD src0_sel:BYTE_3 src1_sel:DWORD
                                        ; implicit-def: $vgpr9
	s_and_saveexec_b64 s[16:17], vcc
	s_xor_b64 s[72:73], exec, s[16:17]
	s_cbranch_execz .LBB4_771
; %bb.762:                              ;   in Loop: Header=BB4_738 Depth=2
	v_mov_b32_e32 v9, 0
	v_cmp_ne_u32_e32 vcc, 0, v11
	s_and_saveexec_b64 s[74:75], vcc
	s_cbranch_execz .LBB4_770
; %bb.763:                              ;   in Loop: Header=BB4_738 Depth=2
	v_bfe_u32 v9, v11, 23, 8
	v_and_b32_e32 v23, 0x7fffff, v11
	v_cmp_gt_u32_e64 s[16:17], s38, v9
	v_sub_u32_e32 v11, 0x79, v9
	v_cmp_eq_u32_e32 vcc, 0, v9
	v_cndmask_b32_e64 v11, 0, v11, s[16:17]
	v_cndmask_b32_e32 v11, v11, v8, vcc
	v_add_u32_e32 v27, 20, v11
	v_or_b32_e32 v24, 0x800000, v23
	v_lshlrev_b64 v[27:28], v27, -1
	v_add_u32_e32 v29, 19, v11
	v_cndmask_b32_e32 v23, v24, v23, vcc
	v_lshlrev_b64 v[29:30], v29, 1
	v_mov_b32_e32 v24, v41
	v_bfi_b32 v28, v28, 0, 0
	v_bfi_b32 v27, v27, 0, v23
	v_cmp_eq_u64_e64 s[16:17], v[27:28], v[29:30]
	v_lshrrev_b64 v[27:28], v11, v[23:24]
	v_mov_b32_e32 v29, v28
	v_mov_b32_e32 v28, v27
	s_and_saveexec_b64 s[76:77], s[16:17]
; %bb.764:                              ;   in Loop: Header=BB4_738 Depth=2
	v_bfe_u32 v23, v27, 20, 1
	v_add_co_u32_e64 v23, s[16:17], v27, v23
	v_add_co_u32_e64 v28, s[16:17], -1, v23
; %bb.765:                              ;   in Loop: Header=BB4_738 Depth=2
	s_or_b64 exec, exec, s[76:77]
	v_add_u32_e32 v9, 0xffffff81, v9
	v_cndmask_b32_e32 v9, v9, v54, vcc
	v_lshrrev_b32_e32 v23, 23, v27
	v_add3_u32 v23, v11, v9, v23
	v_add_u32_e32 v11, 6, v23
	v_and_b32_e32 v9, 0xfffff, v28
	v_add_u32_e32 v27, v9, v27
	v_mov_b32_e32 v28, v41
	v_cmp_ne_u32_e32 vcc, 0, v11
                                        ; implicit-def: $vgpr9
	s_and_saveexec_b64 s[16:17], vcc
	s_xor_b64 s[16:17], exec, s[16:17]
; %bb.766:                              ;   in Loop: Header=BB4_738 Depth=2
	v_cmp_lt_u64_e32 vcc, s[58:59], v[27:28]
	v_add_u32_e32 v9, 7, v23
	v_cndmask_b32_e32 v9, v11, v9, vcc
	v_cndmask_b32_e64 v11, 0, 1, vcc
	v_lshrrev_b64 v[27:28], v11, v[27:28]
; %bb.767:                              ;   in Loop: Header=BB4_738 Depth=2
	s_andn2_saveexec_b64 s[16:17], s[16:17]
; %bb.768:                              ;   in Loop: Header=BB4_738 Depth=2
	v_bfe_u32 v9, v27, 23, 1
; %bb.769:                              ;   in Loop: Header=BB4_738 Depth=2
	s_or_b64 exec, exec, s[16:17]
	v_lshrrev_b64 v[23:24], 20, v[27:28]
	v_cmp_gt_i32_e32 vcc, 16, v9
	v_cndmask_b32_e32 v24, 0, v24, vcc
	v_cndmask_b32_e32 v23, 7, v23, vcc
	v_cmp_eq_u32_e32 vcc, 0, v9
	v_min_i32_e32 v9, 15, v9
	v_cmp_eq_u64_e64 s[16:17], 0, v[23:24]
	v_lshlrev_b32_e32 v9, 3, v9
	v_and_b32_e32 v9, 0xf8, v9
	v_and_or_b32 v9, v23, 7, v9
	s_and_b64 s[16:17], vcc, s[16:17]
	v_cndmask_b32_e64 v9, v9, 0, s[16:17]
	v_or_b32_e32 v9, v9, v0
.LBB4_770:                              ;   in Loop: Header=BB4_738 Depth=2
	s_or_b64 exec, exec, s[74:75]
                                        ; implicit-def: $vgpr0
.LBB4_771:                              ;   in Loop: Header=BB4_738 Depth=2
	s_andn2_saveexec_b64 s[16:17], s[72:73]
; %bb.772:                              ;   in Loop: Header=BB4_738 Depth=2
	v_or_b32_e32 v9, 0x7e, v0
; %bb.773:                              ;   in Loop: Header=BB4_738 Depth=2
	s_or_b64 exec, exec, s[16:17]
                                        ; implicit-def: $vgpr11
.LBB4_774:                              ;   in Loop: Header=BB4_738 Depth=2
	s_andn2_saveexec_b64 s[16:17], s[62:63]
; %bb.775:                              ;   in Loop: Header=BB4_738 Depth=2
	v_or_b32_sdwa v9, v11, s37 dst_sel:DWORD dst_unused:UNUSED_PAD src0_sel:BYTE_3 src1_sel:DWORD
; %bb.776:                              ;   in Loop: Header=BB4_738 Depth=2
	s_or_b64 exec, exec, s[16:17]
	v_lshrrev_b16_e32 v0, 8, v40
	v_cmp_ne_u16_e32 vcc, 0, v0
	v_mov_b32_e32 v11, 0
	s_and_saveexec_b64 s[16:17], vcc
	s_cbranch_execz .LBB4_782
; %bb.777:                              ;   in Loop: Header=BB4_738 Depth=2
	v_cmp_ne_u16_e32 vcc, s36, v0
	v_bfrev_b32_e32 v11, 1
	s_and_saveexec_b64 s[62:63], vcc
	s_cbranch_execz .LBB4_781
; %bb.778:                              ;   in Loop: Header=BB4_738 Depth=2
	v_and_b32_e32 v23, 0x7f, v0
	v_cmp_ne_u32_e32 vcc, s37, v23
	v_mov_b32_e32 v11, 0x7f800001
	s_and_saveexec_b64 s[72:73], vcc
	s_cbranch_execz .LBB4_780
; %bb.779:                              ;   in Loop: Header=BB4_738 Depth=2
	v_and_b32_e32 v11, 7, v0
	v_lshrrev_b32_e32 v27, 3, v23
	v_cmp_gt_u32_e32 vcc, 8, v23
	v_ffbh_u32_e32 v23, v11
	v_min_u32_e32 v28, 32, v23
	v_subrev_u32_e32 v23, 28, v28
	v_lshlrev_b64 v[23:24], v23, v[0:1]
	v_sub_u32_e32 v0, 29, v28
	v_and_b32_e32 v23, 7, v23
	v_cndmask_b32_e32 v0, v27, v0, vcc
	v_cndmask_b32_e32 v11, v11, v23, vcc
	v_lshlrev_b32_e32 v23, 16, v40
	v_lshlrev_b32_e32 v11, 20, v11
	v_and_b32_e32 v23, 0x80000000, v23
	v_lshl_add_u32 v0, v0, 23, v7
	v_or3_b32 v11, v23, v0, v11
.LBB4_780:                              ;   in Loop: Header=BB4_738 Depth=2
	s_or_b64 exec, exec, s[72:73]
.LBB4_781:                              ;   in Loop: Header=BB4_738 Depth=2
	s_or_b64 exec, exec, s[62:63]
.LBB4_782:                              ;   in Loop: Header=BB4_738 Depth=2
	s_or_b64 exec, exec, s[16:17]
	v_mul_f32_e32 v27, v62, v11
	v_and_b32_e32 v23, 0x7f800000, v27
	v_mov_b32_e32 v24, v41
	v_cmp_ne_u64_e32 vcc, s[46:47], v[23:24]
                                        ; implicit-def: $vgpr11
	s_and_saveexec_b64 s[16:17], vcc
	s_xor_b64 s[62:63], exec, s[16:17]
	s_cbranch_execz .LBB4_796
; %bb.783:                              ;   in Loop: Header=BB4_738 Depth=2
	v_and_b32_e32 v23, 0x7fffffff, v27
	v_mov_b32_e32 v24, v41
	v_cmp_gt_u64_e32 vcc, s[56:57], v[23:24]
	v_and_b32_sdwa v0, v27, s36 dst_sel:DWORD dst_unused:UNUSED_PAD src0_sel:BYTE_3 src1_sel:DWORD
                                        ; implicit-def: $vgpr11
	s_and_saveexec_b64 s[16:17], vcc
	s_xor_b64 s[72:73], exec, s[16:17]
	s_cbranch_execz .LBB4_793
; %bb.784:                              ;   in Loop: Header=BB4_738 Depth=2
	v_mov_b32_e32 v11, 0
	v_cmp_ne_u32_e32 vcc, 0, v27
	s_and_saveexec_b64 s[74:75], vcc
	s_cbranch_execz .LBB4_792
; %bb.785:                              ;   in Loop: Header=BB4_738 Depth=2
	v_bfe_u32 v11, v27, 23, 8
	v_cmp_gt_u32_e64 s[16:17], s38, v11
	v_sub_u32_e32 v24, 0x79, v11
	v_and_b32_e32 v23, 0x7fffff, v27
	v_cmp_eq_u32_e32 vcc, 0, v11
	v_cndmask_b32_e64 v24, 0, v24, s[16:17]
	v_or_b32_e32 v27, 0x800000, v23
	v_cndmask_b32_e32 v30, v24, v8, vcc
	v_cndmask_b32_e32 v23, v27, v23, vcc
	v_add_u32_e32 v27, 20, v30
	v_lshlrev_b64 v[27:28], v27, -1
	v_add_u32_e32 v29, 19, v30
	v_lshlrev_b64 v[31:32], v29, 1
	v_mov_b32_e32 v24, v41
	v_bfi_b32 v28, v28, 0, 0
	v_bfi_b32 v27, v27, 0, v23
	v_cmp_eq_u64_e64 s[16:17], v[27:28], v[31:32]
	v_lshrrev_b64 v[27:28], v30, v[23:24]
	v_mov_b32_e32 v29, v28
	v_mov_b32_e32 v28, v27
	s_and_saveexec_b64 s[76:77], s[16:17]
; %bb.786:                              ;   in Loop: Header=BB4_738 Depth=2
	v_bfe_u32 v23, v27, 20, 1
	v_add_co_u32_e64 v23, s[16:17], v27, v23
	v_add_co_u32_e64 v28, s[16:17], -1, v23
; %bb.787:                              ;   in Loop: Header=BB4_738 Depth=2
	s_or_b64 exec, exec, s[76:77]
	v_add_u32_e32 v11, 0xffffff81, v11
	v_cndmask_b32_e32 v11, v11, v54, vcc
	v_lshrrev_b32_e32 v23, 23, v27
	v_add3_u32 v24, v30, v11, v23
	v_add_u32_e32 v23, 6, v24
	v_and_b32_e32 v11, 0xfffff, v28
	v_add_u32_e32 v27, v11, v27
	v_mov_b32_e32 v28, v41
	v_cmp_ne_u32_e32 vcc, 0, v23
                                        ; implicit-def: $vgpr11
	s_and_saveexec_b64 s[16:17], vcc
	s_xor_b64 s[16:17], exec, s[16:17]
; %bb.788:                              ;   in Loop: Header=BB4_738 Depth=2
	v_cmp_lt_u64_e32 vcc, s[58:59], v[27:28]
	v_add_u32_e32 v11, 7, v24
	v_cndmask_b32_e32 v11, v23, v11, vcc
	v_cndmask_b32_e64 v23, 0, 1, vcc
	v_lshrrev_b64 v[27:28], v23, v[27:28]
; %bb.789:                              ;   in Loop: Header=BB4_738 Depth=2
	s_andn2_saveexec_b64 s[16:17], s[16:17]
; %bb.790:                              ;   in Loop: Header=BB4_738 Depth=2
	v_bfe_u32 v11, v27, 23, 1
; %bb.791:                              ;   in Loop: Header=BB4_738 Depth=2
	s_or_b64 exec, exec, s[16:17]
	v_lshrrev_b64 v[23:24], 20, v[27:28]
	v_cmp_gt_i32_e32 vcc, 16, v11
	v_cndmask_b32_e32 v24, 0, v24, vcc
	v_cndmask_b32_e32 v23, 7, v23, vcc
	v_cmp_eq_u32_e32 vcc, 0, v11
	v_min_i32_e32 v11, 15, v11
	v_cmp_eq_u64_e64 s[16:17], 0, v[23:24]
	v_lshlrev_b32_e32 v11, 3, v11
	v_and_b32_e32 v11, 0xf8, v11
	v_and_or_b32 v11, v23, 7, v11
	s_and_b64 s[16:17], vcc, s[16:17]
	v_cndmask_b32_e64 v11, v11, 0, s[16:17]
	v_or_b32_e32 v11, v11, v0
.LBB4_792:                              ;   in Loop: Header=BB4_738 Depth=2
	s_or_b64 exec, exec, s[74:75]
                                        ; implicit-def: $vgpr0
.LBB4_793:                              ;   in Loop: Header=BB4_738 Depth=2
	s_andn2_saveexec_b64 s[16:17], s[72:73]
; %bb.794:                              ;   in Loop: Header=BB4_738 Depth=2
	v_or_b32_e32 v11, 0x7e, v0
; %bb.795:                              ;   in Loop: Header=BB4_738 Depth=2
	s_or_b64 exec, exec, s[16:17]
                                        ; implicit-def: $vgpr27
.LBB4_796:                              ;   in Loop: Header=BB4_738 Depth=2
	s_andn2_saveexec_b64 s[16:17], s[62:63]
; %bb.797:                              ;   in Loop: Header=BB4_738 Depth=2
	v_or_b32_sdwa v11, v27, s37 dst_sel:DWORD dst_unused:UNUSED_PAD src0_sel:BYTE_3 src1_sel:DWORD
; %bb.798:                              ;   in Loop: Header=BB4_738 Depth=2
	s_or_b64 exec, exec, s[16:17]
	v_and_b32_sdwa v24, v40, s35 dst_sel:DWORD dst_unused:UNUSED_PAD src0_sel:WORD_1 src1_sel:DWORD
	v_lshrrev_b32_e32 v0, 16, v40
	v_cmp_ne_u16_e32 vcc, 0, v24
	v_mov_b32_e32 v23, 0
	s_and_saveexec_b64 s[16:17], vcc
	s_cbranch_execz .LBB4_804
; %bb.799:                              ;   in Loop: Header=BB4_738 Depth=2
	v_cmp_ne_u16_e32 vcc, s36, v24
	v_bfrev_b32_e32 v23, 1
	s_and_saveexec_b64 s[62:63], vcc
	s_cbranch_execz .LBB4_803
; %bb.800:                              ;   in Loop: Header=BB4_738 Depth=2
	v_bfe_u32 v24, v40, 16, 7
	v_cmp_ne_u32_e32 vcc, s37, v24
	v_mov_b32_e32 v23, 0x7f800001
	s_and_saveexec_b64 s[72:73], vcc
	s_cbranch_execz .LBB4_802
; %bb.801:                              ;   in Loop: Header=BB4_738 Depth=2
	v_and_b32_e32 v27, 7, v0
	v_ffbh_u32_e32 v23, v27
	v_min_u32_e32 v29, 32, v23
	v_subrev_u32_e32 v23, 28, v29
	v_lshrrev_b32_e32 v28, 3, v24
	v_cmp_gt_u32_e32 vcc, 8, v24
	v_lshlrev_b64 v[23:24], v23, v[0:1]
	v_sub_u32_e32 v0, 29, v29
	v_and_b32_e32 v23, 7, v23
	v_cndmask_b32_e32 v0, v28, v0, vcc
	v_cndmask_b32_e32 v23, v27, v23, vcc
	v_lshlrev_b32_sdwa v24, v55, v40 dst_sel:DWORD dst_unused:UNUSED_PAD src0_sel:DWORD src1_sel:WORD_1
	v_lshlrev_b32_e32 v23, 20, v23
	v_and_b32_e32 v24, 0x80000000, v24
	v_lshl_add_u32 v0, v0, 23, v7
	v_or3_b32 v23, v24, v0, v23
.LBB4_802:                              ;   in Loop: Header=BB4_738 Depth=2
	s_or_b64 exec, exec, s[72:73]
.LBB4_803:                              ;   in Loop: Header=BB4_738 Depth=2
	s_or_b64 exec, exec, s[62:63]
.LBB4_804:                              ;   in Loop: Header=BB4_738 Depth=2
	s_or_b64 exec, exec, s[16:17]
	v_mul_f32_e32 v27, v62, v23
	v_and_b32_e32 v23, 0x7f800000, v27
	v_mov_b32_e32 v24, v41
	v_cmp_ne_u64_e32 vcc, s[46:47], v[23:24]
                                        ; implicit-def: $vgpr31
	s_and_saveexec_b64 s[16:17], vcc
	s_xor_b64 s[62:63], exec, s[16:17]
	s_cbranch_execz .LBB4_818
; %bb.805:                              ;   in Loop: Header=BB4_738 Depth=2
	v_and_b32_e32 v23, 0x7fffffff, v27
	v_mov_b32_e32 v24, v41
	v_cmp_gt_u64_e32 vcc, s[56:57], v[23:24]
	v_and_b32_sdwa v0, v27, s36 dst_sel:DWORD dst_unused:UNUSED_PAD src0_sel:BYTE_3 src1_sel:DWORD
                                        ; implicit-def: $vgpr31
	s_and_saveexec_b64 s[16:17], vcc
	s_xor_b64 s[72:73], exec, s[16:17]
	s_cbranch_execz .LBB4_815
; %bb.806:                              ;   in Loop: Header=BB4_738 Depth=2
	v_mov_b32_e32 v31, 0
	v_cmp_ne_u32_e32 vcc, 0, v27
	s_and_saveexec_b64 s[74:75], vcc
	s_cbranch_execz .LBB4_814
; %bb.807:                              ;   in Loop: Header=BB4_738 Depth=2
	v_bfe_u32 v30, v27, 23, 8
	v_cmp_gt_u32_e64 s[16:17], s38, v30
	v_sub_u32_e32 v24, 0x79, v30
	v_and_b32_e32 v23, 0x7fffff, v27
	v_cmp_eq_u32_e32 vcc, 0, v30
	v_cndmask_b32_e64 v24, 0, v24, s[16:17]
	v_or_b32_e32 v27, 0x800000, v23
	v_cndmask_b32_e32 v31, v24, v8, vcc
	v_cndmask_b32_e32 v23, v27, v23, vcc
	v_add_u32_e32 v27, 20, v31
	v_lshlrev_b64 v[27:28], v27, -1
	v_add_u32_e32 v29, 19, v31
	v_lshlrev_b64 v[32:33], v29, 1
	v_mov_b32_e32 v24, v41
	v_bfi_b32 v28, v28, 0, 0
	v_bfi_b32 v27, v27, 0, v23
	v_cmp_eq_u64_e64 s[16:17], v[27:28], v[32:33]
	v_lshrrev_b64 v[27:28], v31, v[23:24]
	v_mov_b32_e32 v29, v28
	v_mov_b32_e32 v28, v27
	s_and_saveexec_b64 s[76:77], s[16:17]
; %bb.808:                              ;   in Loop: Header=BB4_738 Depth=2
	v_bfe_u32 v23, v27, 20, 1
	v_add_co_u32_e64 v23, s[16:17], v27, v23
	v_add_co_u32_e64 v28, s[16:17], -1, v23
; %bb.809:                              ;   in Loop: Header=BB4_738 Depth=2
	s_or_b64 exec, exec, s[76:77]
	v_add_u32_e32 v23, 0xffffff81, v30
	v_cndmask_b32_e32 v23, v23, v54, vcc
	v_lshrrev_b32_e32 v24, 23, v27
	v_add3_u32 v24, v31, v23, v24
	v_add_u32_e32 v23, 6, v24
	v_and_b32_e32 v28, 0xfffff, v28
	v_add_u32_e32 v27, v28, v27
	v_mov_b32_e32 v28, v41
	v_cmp_ne_u32_e32 vcc, 0, v23
                                        ; implicit-def: $vgpr29
	s_and_saveexec_b64 s[16:17], vcc
	s_xor_b64 s[16:17], exec, s[16:17]
; %bb.810:                              ;   in Loop: Header=BB4_738 Depth=2
	v_cmp_lt_u64_e32 vcc, s[58:59], v[27:28]
	v_add_u32_e32 v24, 7, v24
	v_cndmask_b32_e32 v29, v23, v24, vcc
	v_cndmask_b32_e64 v23, 0, 1, vcc
	v_lshrrev_b64 v[27:28], v23, v[27:28]
; %bb.811:                              ;   in Loop: Header=BB4_738 Depth=2
	s_andn2_saveexec_b64 s[16:17], s[16:17]
; %bb.812:                              ;   in Loop: Header=BB4_738 Depth=2
	v_bfe_u32 v29, v27, 23, 1
; %bb.813:                              ;   in Loop: Header=BB4_738 Depth=2
	s_or_b64 exec, exec, s[16:17]
	v_lshrrev_b64 v[23:24], 20, v[27:28]
	v_cmp_gt_i32_e32 vcc, 16, v29
	v_cndmask_b32_e32 v24, 0, v24, vcc
	v_cndmask_b32_e32 v23, 7, v23, vcc
	v_cmp_eq_u64_e64 s[16:17], 0, v[23:24]
	v_min_i32_e32 v24, 15, v29
	v_lshlrev_b32_e32 v24, 3, v24
	v_cmp_eq_u32_e32 vcc, 0, v29
	v_and_b32_e32 v24, 0xf8, v24
	v_and_or_b32 v23, v23, 7, v24
	s_and_b64 s[16:17], vcc, s[16:17]
	v_cndmask_b32_e64 v23, v23, 0, s[16:17]
	v_or_b32_e32 v31, v23, v0
.LBB4_814:                              ;   in Loop: Header=BB4_738 Depth=2
	s_or_b64 exec, exec, s[74:75]
                                        ; implicit-def: $vgpr0
.LBB4_815:                              ;   in Loop: Header=BB4_738 Depth=2
	s_andn2_saveexec_b64 s[16:17], s[72:73]
; %bb.816:                              ;   in Loop: Header=BB4_738 Depth=2
	v_or_b32_e32 v31, 0x7e, v0
; %bb.817:                              ;   in Loop: Header=BB4_738 Depth=2
	s_or_b64 exec, exec, s[16:17]
                                        ; implicit-def: $vgpr27
.LBB4_818:                              ;   in Loop: Header=BB4_738 Depth=2
	s_andn2_saveexec_b64 s[16:17], s[62:63]
; %bb.819:                              ;   in Loop: Header=BB4_738 Depth=2
	v_or_b32_sdwa v31, v27, s37 dst_sel:DWORD dst_unused:UNUSED_PAD src0_sel:BYTE_3 src1_sel:DWORD
; %bb.820:                              ;   in Loop: Header=BB4_738 Depth=2
	s_or_b64 exec, exec, s[16:17]
	v_cmp_lt_u32_e32 vcc, s39, v40
	v_mov_b32_e32 v23, 0
	s_and_saveexec_b64 s[16:17], vcc
	s_cbranch_execz .LBB4_826
; %bb.821:                              ;   in Loop: Header=BB4_738 Depth=2
	v_lshrrev_b32_e32 v0, 24, v40
	v_cmp_ne_u32_sdwa s[72:73], v40, s36 src0_sel:BYTE_3 src1_sel:DWORD
	v_bfrev_b32_e32 v23, 1
	s_and_saveexec_b64 s[62:63], s[72:73]
	s_cbranch_execz .LBB4_825
; %bb.822:                              ;   in Loop: Header=BB4_738 Depth=2
	v_bfe_u32 v24, v40, 24, 7
	v_cmp_ne_u32_e32 vcc, s37, v24
	v_mov_b32_e32 v23, 0x7f800001
	s_and_saveexec_b64 s[72:73], vcc
	s_cbranch_execz .LBB4_824
; %bb.823:                              ;   in Loop: Header=BB4_738 Depth=2
	v_and_b32_e32 v27, 7, v0
	v_ffbh_u32_e32 v23, v27
	v_min_u32_e32 v29, 32, v23
	v_subrev_u32_e32 v23, 28, v29
	v_lshrrev_b32_e32 v28, 3, v24
	v_cmp_gt_u32_e32 vcc, 8, v24
	v_lshlrev_b64 v[23:24], v23, v[0:1]
	v_sub_u32_e32 v0, 29, v29
	v_and_b32_e32 v23, 7, v23
	v_cndmask_b32_e32 v0, v28, v0, vcc
	v_cndmask_b32_e32 v23, v27, v23, vcc
	v_lshlrev_b32_sdwa v24, v55, v40 dst_sel:DWORD dst_unused:UNUSED_PAD src0_sel:DWORD src1_sel:BYTE_3
	v_lshlrev_b32_e32 v23, 20, v23
	v_and_b32_e32 v24, 0x80000000, v24
	v_lshl_add_u32 v0, v0, 23, v7
	v_or3_b32 v23, v24, v0, v23
.LBB4_824:                              ;   in Loop: Header=BB4_738 Depth=2
	s_or_b64 exec, exec, s[72:73]
.LBB4_825:                              ;   in Loop: Header=BB4_738 Depth=2
	s_or_b64 exec, exec, s[62:63]
.LBB4_826:                              ;   in Loop: Header=BB4_738 Depth=2
	s_or_b64 exec, exec, s[16:17]
	v_mul_f32_e32 v27, v62, v23
	v_and_b32_e32 v40, 0x7f800000, v27
	v_cmp_ne_u64_e32 vcc, s[46:47], v[40:41]
                                        ; implicit-def: $vgpr33
	s_and_saveexec_b64 s[16:17], vcc
	s_xor_b64 s[62:63], exec, s[16:17]
	s_cbranch_execz .LBB4_840
; %bb.827:                              ;   in Loop: Header=BB4_738 Depth=2
	v_and_b32_e32 v40, 0x7fffffff, v27
	v_cmp_gt_u64_e32 vcc, s[56:57], v[40:41]
	v_and_b32_sdwa v0, v27, s36 dst_sel:DWORD dst_unused:UNUSED_PAD src0_sel:BYTE_3 src1_sel:DWORD
                                        ; implicit-def: $vgpr33
	s_and_saveexec_b64 s[16:17], vcc
	s_xor_b64 s[72:73], exec, s[16:17]
	s_cbranch_execz .LBB4_837
; %bb.828:                              ;   in Loop: Header=BB4_738 Depth=2
	v_mov_b32_e32 v33, 0
	v_cmp_ne_u32_e32 vcc, 0, v27
	s_and_saveexec_b64 s[74:75], vcc
	s_cbranch_execz .LBB4_836
; %bb.829:                              ;   in Loop: Header=BB4_738 Depth=2
	v_bfe_u32 v30, v27, 23, 8
	v_cmp_gt_u32_e64 s[16:17], s38, v30
	v_sub_u32_e32 v24, 0x79, v30
	v_and_b32_e32 v23, 0x7fffff, v27
	v_cmp_eq_u32_e32 vcc, 0, v30
	v_cndmask_b32_e64 v24, 0, v24, s[16:17]
	v_or_b32_e32 v27, 0x800000, v23
	v_cndmask_b32_e32 v32, v24, v8, vcc
	v_cndmask_b32_e32 v40, v27, v23, vcc
	v_add_u32_e32 v23, 20, v32
	v_lshlrev_b64 v[23:24], v23, -1
	v_add_u32_e32 v27, 19, v32
	v_lshlrev_b64 v[27:28], v27, 1
	v_bfi_b32 v24, v24, 0, 0
	v_bfi_b32 v23, v23, 0, v40
	v_cmp_eq_u64_e64 s[16:17], v[23:24], v[27:28]
	v_lshrrev_b64 v[27:28], v32, v[40:41]
	v_mov_b32_e32 v29, v28
	v_mov_b32_e32 v28, v27
	s_and_saveexec_b64 s[76:77], s[16:17]
; %bb.830:                              ;   in Loop: Header=BB4_738 Depth=2
	v_bfe_u32 v23, v27, 20, 1
	v_add_co_u32_e64 v23, s[16:17], v27, v23
	v_add_co_u32_e64 v28, s[16:17], -1, v23
; %bb.831:                              ;   in Loop: Header=BB4_738 Depth=2
	s_or_b64 exec, exec, s[76:77]
	v_add_u32_e32 v23, 0xffffff81, v30
	v_cndmask_b32_e32 v23, v23, v54, vcc
	v_lshrrev_b32_e32 v24, 23, v27
	v_add3_u32 v24, v32, v23, v24
	v_add_u32_e32 v23, 6, v24
	v_and_b32_e32 v28, 0xfffff, v28
	v_add_u32_e32 v40, v28, v27
	v_cmp_ne_u32_e32 vcc, 0, v23
                                        ; implicit-def: $vgpr27_vgpr28
                                        ; implicit-def: $vgpr29
	s_and_saveexec_b64 s[16:17], vcc
	s_xor_b64 s[16:17], exec, s[16:17]
; %bb.832:                              ;   in Loop: Header=BB4_738 Depth=2
	v_cmp_lt_u64_e32 vcc, s[58:59], v[40:41]
	v_add_u32_e32 v24, 7, v24
	v_cndmask_b32_e32 v29, v23, v24, vcc
	v_cndmask_b32_e64 v23, 0, 1, vcc
	v_lshrrev_b64 v[27:28], v23, v[40:41]
; %bb.833:                              ;   in Loop: Header=BB4_738 Depth=2
	s_andn2_saveexec_b64 s[16:17], s[16:17]
; %bb.834:                              ;   in Loop: Header=BB4_738 Depth=2
	v_mov_b32_e32 v27, v40
	v_bfe_u32 v29, v40, 23, 1
	v_mov_b32_e32 v28, v41
; %bb.835:                              ;   in Loop: Header=BB4_738 Depth=2
	s_or_b64 exec, exec, s[16:17]
	v_lshrrev_b64 v[23:24], 20, v[27:28]
	v_cmp_gt_i32_e32 vcc, 16, v29
	v_cndmask_b32_e32 v24, 0, v24, vcc
	v_cndmask_b32_e32 v23, 7, v23, vcc
	v_cmp_eq_u64_e64 s[16:17], 0, v[23:24]
	v_min_i32_e32 v24, 15, v29
	v_lshlrev_b32_e32 v24, 3, v24
	v_cmp_eq_u32_e32 vcc, 0, v29
	v_and_b32_e32 v24, 0xf8, v24
	v_and_or_b32 v23, v23, 7, v24
	s_and_b64 s[16:17], vcc, s[16:17]
	v_cndmask_b32_e64 v23, v23, 0, s[16:17]
	v_or_b32_e32 v33, v23, v0
.LBB4_836:                              ;   in Loop: Header=BB4_738 Depth=2
	s_or_b64 exec, exec, s[74:75]
                                        ; implicit-def: $vgpr0
.LBB4_837:                              ;   in Loop: Header=BB4_738 Depth=2
	s_andn2_saveexec_b64 s[16:17], s[72:73]
; %bb.838:                              ;   in Loop: Header=BB4_738 Depth=2
	v_or_b32_e32 v33, 0x7e, v0
; %bb.839:                              ;   in Loop: Header=BB4_738 Depth=2
	s_or_b64 exec, exec, s[16:17]
                                        ; implicit-def: $vgpr27
.LBB4_840:                              ;   in Loop: Header=BB4_738 Depth=2
	s_andn2_saveexec_b64 s[16:17], s[62:63]
; %bb.841:                              ;   in Loop: Header=BB4_738 Depth=2
	v_or_b32_sdwa v33, v27, s37 dst_sel:DWORD dst_unused:UNUSED_PAD src0_sel:BYTE_3 src1_sel:DWORD
; %bb.842:                              ;   in Loop: Header=BB4_738 Depth=2
	s_or_b64 exec, exec, s[16:17]
	v_alignbit_b32 v40, v10, v26, v4
	v_cmp_ne_u16_sdwa s[62:63], v40, v41 src0_sel:BYTE_0 src1_sel:DWORD
	v_mov_b32_e32 v0, 0
	s_and_saveexec_b64 s[16:17], s[62:63]
	s_cbranch_execz .LBB4_848
; %bb.843:                              ;   in Loop: Header=BB4_738 Depth=2
	v_cmp_ne_u16_sdwa s[72:73], v40, s36 src0_sel:BYTE_0 src1_sel:DWORD
	v_bfrev_b32_e32 v0, 1
	s_and_saveexec_b64 s[62:63], s[72:73]
	s_cbranch_execz .LBB4_847
; %bb.844:                              ;   in Loop: Header=BB4_738 Depth=2
	v_and_b32_e32 v4, 0x7f, v40
	v_cmp_ne_u32_e32 vcc, s37, v4
	v_mov_b32_e32 v0, 0x7f800001
	s_and_saveexec_b64 s[72:73], vcc
	s_cbranch_execz .LBB4_846
; %bb.845:                              ;   in Loop: Header=BB4_738 Depth=2
	v_and_b32_e32 v0, 7, v40
	v_ffbh_u32_e32 v0, v0
	v_min_u32_e32 v0, 32, v0
	v_lshrrev_b32_e32 v10, 3, v4
	v_cmp_gt_u32_e32 vcc, 8, v4
	v_subrev_u32_e32 v4, 28, v0
	v_cndmask_b32_e32 v4, 0, v4, vcc
	v_lshlrev_b64 v[23:24], v4, v[40:41]
	v_sub_u32_e32 v0, 29, v0
	v_cndmask_b32_e32 v0, v10, v0, vcc
	v_lshlrev_b32_e32 v4, 20, v23
	v_lshlrev_b32_e32 v10, 24, v40
	v_and_b32_e32 v4, 0x700000, v4
	v_and_b32_e32 v10, 0x80000000, v10
	v_lshl_add_u32 v0, v0, 23, v7
	v_or3_b32 v0, v10, v0, v4
.LBB4_846:                              ;   in Loop: Header=BB4_738 Depth=2
	s_or_b64 exec, exec, s[72:73]
.LBB4_847:                              ;   in Loop: Header=BB4_738 Depth=2
	s_or_b64 exec, exec, s[62:63]
.LBB4_848:                              ;   in Loop: Header=BB4_738 Depth=2
	s_or_b64 exec, exec, s[16:17]
	v_mul_f32_e32 v4, v62, v0
	v_and_b32_e32 v23, 0x7f800000, v4
	v_mov_b32_e32 v24, v41
	v_cmp_ne_u64_e32 vcc, s[46:47], v[23:24]
                                        ; implicit-def: $vgpr10
	s_and_saveexec_b64 s[16:17], vcc
	s_xor_b64 s[62:63], exec, s[16:17]
	s_cbranch_execz .LBB4_862
; %bb.849:                              ;   in Loop: Header=BB4_738 Depth=2
	v_and_b32_e32 v23, 0x7fffffff, v4
	v_mov_b32_e32 v24, v41
	v_cmp_gt_u64_e32 vcc, s[56:57], v[23:24]
	v_and_b32_sdwa v0, v4, s36 dst_sel:DWORD dst_unused:UNUSED_PAD src0_sel:BYTE_3 src1_sel:DWORD
                                        ; implicit-def: $vgpr10
	s_and_saveexec_b64 s[16:17], vcc
	s_xor_b64 s[72:73], exec, s[16:17]
	s_cbranch_execz .LBB4_859
; %bb.850:                              ;   in Loop: Header=BB4_738 Depth=2
	v_mov_b32_e32 v10, 0
	v_cmp_ne_u32_e32 vcc, 0, v4
	s_and_saveexec_b64 s[74:75], vcc
	s_cbranch_execz .LBB4_858
; %bb.851:                              ;   in Loop: Header=BB4_738 Depth=2
	v_and_b32_e32 v23, 0x7fffff, v4
	v_bfe_u32 v4, v4, 23, 8
	v_cmp_gt_u32_e64 s[16:17], s38, v4
	v_sub_u32_e32 v10, 0x79, v4
	v_cmp_eq_u32_e32 vcc, 0, v4
	v_cndmask_b32_e64 v10, 0, v10, s[16:17]
	v_cndmask_b32_e32 v10, v10, v8, vcc
	v_add_u32_e32 v26, 20, v10
	v_or_b32_e32 v24, 0x800000, v23
	v_lshlrev_b64 v[26:27], v26, -1
	v_add_u32_e32 v28, 19, v10
	v_cndmask_b32_e32 v23, v24, v23, vcc
	v_lshlrev_b64 v[28:29], v28, 1
	v_mov_b32_e32 v24, v41
	v_bfi_b32 v27, v27, 0, 0
	v_bfi_b32 v26, v26, 0, v23
	v_cmp_eq_u64_e64 s[16:17], v[26:27], v[28:29]
	v_lshrrev_b64 v[27:28], v10, v[23:24]
	v_mov_b32_e32 v29, v28
	v_mov_b32_e32 v28, v27
	s_and_saveexec_b64 s[76:77], s[16:17]
; %bb.852:                              ;   in Loop: Header=BB4_738 Depth=2
	v_bfe_u32 v23, v27, 20, 1
	v_add_co_u32_e64 v23, s[16:17], v27, v23
	v_add_co_u32_e64 v28, s[16:17], -1, v23
; %bb.853:                              ;   in Loop: Header=BB4_738 Depth=2
	s_or_b64 exec, exec, s[76:77]
	v_add_u32_e32 v4, 0xffffff81, v4
	v_cndmask_b32_e32 v4, v4, v54, vcc
	v_lshrrev_b32_e32 v23, 23, v27
	v_add3_u32 v23, v10, v4, v23
	v_add_u32_e32 v10, 6, v23
	v_and_b32_e32 v4, 0xfffff, v28
	v_add_u32_e32 v27, v4, v27
	v_mov_b32_e32 v28, v41
	v_cmp_ne_u32_e32 vcc, 0, v10
                                        ; implicit-def: $vgpr4
	s_and_saveexec_b64 s[16:17], vcc
	s_xor_b64 s[16:17], exec, s[16:17]
; %bb.854:                              ;   in Loop: Header=BB4_738 Depth=2
	v_cmp_lt_u64_e32 vcc, s[58:59], v[27:28]
	v_add_u32_e32 v4, 7, v23
	v_cndmask_b32_e32 v4, v10, v4, vcc
	v_cndmask_b32_e64 v10, 0, 1, vcc
	v_lshrrev_b64 v[27:28], v10, v[27:28]
; %bb.855:                              ;   in Loop: Header=BB4_738 Depth=2
	s_andn2_saveexec_b64 s[16:17], s[16:17]
; %bb.856:                              ;   in Loop: Header=BB4_738 Depth=2
	v_bfe_u32 v4, v27, 23, 1
; %bb.857:                              ;   in Loop: Header=BB4_738 Depth=2
	s_or_b64 exec, exec, s[16:17]
	v_lshrrev_b64 v[23:24], 20, v[27:28]
	v_cmp_gt_i32_e32 vcc, 16, v4
	v_cndmask_b32_e32 v24, 0, v24, vcc
	v_cndmask_b32_e32 v23, 7, v23, vcc
	v_cmp_eq_u32_e32 vcc, 0, v4
	v_min_i32_e32 v4, 15, v4
	v_cmp_eq_u64_e64 s[16:17], 0, v[23:24]
	v_lshlrev_b32_e32 v4, 3, v4
	v_and_b32_e32 v4, 0xf8, v4
	v_and_or_b32 v4, v23, 7, v4
	s_and_b64 s[16:17], vcc, s[16:17]
	v_cndmask_b32_e64 v4, v4, 0, s[16:17]
	v_or_b32_e32 v10, v4, v0
.LBB4_858:                              ;   in Loop: Header=BB4_738 Depth=2
	s_or_b64 exec, exec, s[74:75]
                                        ; implicit-def: $vgpr0
.LBB4_859:                              ;   in Loop: Header=BB4_738 Depth=2
	s_andn2_saveexec_b64 s[16:17], s[72:73]
; %bb.860:                              ;   in Loop: Header=BB4_738 Depth=2
	v_or_b32_e32 v10, 0x7e, v0
; %bb.861:                              ;   in Loop: Header=BB4_738 Depth=2
	s_or_b64 exec, exec, s[16:17]
                                        ; implicit-def: $vgpr4
.LBB4_862:                              ;   in Loop: Header=BB4_738 Depth=2
	s_andn2_saveexec_b64 s[16:17], s[62:63]
; %bb.863:                              ;   in Loop: Header=BB4_738 Depth=2
	v_or_b32_sdwa v10, v4, s37 dst_sel:DWORD dst_unused:UNUSED_PAD src0_sel:BYTE_3 src1_sel:DWORD
; %bb.864:                              ;   in Loop: Header=BB4_738 Depth=2
	s_or_b64 exec, exec, s[16:17]
	v_lshrrev_b16_e32 v0, 8, v40
	v_cmp_ne_u16_e32 vcc, 0, v0
	v_mov_b32_e32 v4, 0
	s_and_saveexec_b64 s[16:17], vcc
	s_cbranch_execz .LBB4_870
; %bb.865:                              ;   in Loop: Header=BB4_738 Depth=2
	v_cmp_ne_u16_e32 vcc, s36, v0
	v_bfrev_b32_e32 v4, 1
	s_and_saveexec_b64 s[62:63], vcc
	s_cbranch_execz .LBB4_869
; %bb.866:                              ;   in Loop: Header=BB4_738 Depth=2
	v_and_b32_e32 v23, 0x7f, v0
	v_cmp_ne_u32_e32 vcc, s37, v23
	v_mov_b32_e32 v4, 0x7f800001
	s_and_saveexec_b64 s[72:73], vcc
	s_cbranch_execz .LBB4_868
; %bb.867:                              ;   in Loop: Header=BB4_738 Depth=2
	v_and_b32_e32 v4, 7, v0
	v_lshrrev_b32_e32 v26, 3, v23
	v_cmp_gt_u32_e32 vcc, 8, v23
	v_ffbh_u32_e32 v23, v4
	v_min_u32_e32 v27, 32, v23
	v_subrev_u32_e32 v23, 28, v27
	v_lshlrev_b64 v[23:24], v23, v[0:1]
	v_sub_u32_e32 v0, 29, v27
	v_and_b32_e32 v23, 7, v23
	v_cndmask_b32_e32 v0, v26, v0, vcc
	v_cndmask_b32_e32 v4, v4, v23, vcc
	v_lshlrev_b32_e32 v23, 16, v40
	v_lshlrev_b32_e32 v4, 20, v4
	v_and_b32_e32 v23, 0x80000000, v23
	v_lshl_add_u32 v0, v0, 23, v7
	v_or3_b32 v4, v23, v0, v4
.LBB4_868:                              ;   in Loop: Header=BB4_738 Depth=2
	s_or_b64 exec, exec, s[72:73]
.LBB4_869:                              ;   in Loop: Header=BB4_738 Depth=2
	s_or_b64 exec, exec, s[62:63]
.LBB4_870:                              ;   in Loop: Header=BB4_738 Depth=2
	s_or_b64 exec, exec, s[16:17]
	v_mul_f32_e32 v4, v62, v4
	v_and_b32_e32 v23, 0x7f800000, v4
	v_mov_b32_e32 v24, v41
	v_cmp_ne_u64_e32 vcc, s[46:47], v[23:24]
                                        ; implicit-def: $vgpr26
	s_and_saveexec_b64 s[16:17], vcc
	s_xor_b64 s[62:63], exec, s[16:17]
	s_cbranch_execz .LBB4_884
; %bb.871:                              ;   in Loop: Header=BB4_738 Depth=2
	v_and_b32_e32 v23, 0x7fffffff, v4
	v_mov_b32_e32 v24, v41
	v_cmp_gt_u64_e32 vcc, s[56:57], v[23:24]
	v_and_b32_sdwa v0, v4, s36 dst_sel:DWORD dst_unused:UNUSED_PAD src0_sel:BYTE_3 src1_sel:DWORD
                                        ; implicit-def: $vgpr26
	s_and_saveexec_b64 s[16:17], vcc
	s_xor_b64 s[72:73], exec, s[16:17]
	s_cbranch_execz .LBB4_881
; %bb.872:                              ;   in Loop: Header=BB4_738 Depth=2
	v_mov_b32_e32 v26, 0
	v_cmp_ne_u32_e32 vcc, 0, v4
	s_and_saveexec_b64 s[74:75], vcc
	s_cbranch_execz .LBB4_880
; %bb.873:                              ;   in Loop: Header=BB4_738 Depth=2
	v_and_b32_e32 v23, 0x7fffff, v4
	v_bfe_u32 v4, v4, 23, 8
	v_cmp_gt_u32_e64 s[16:17], s38, v4
	v_sub_u32_e32 v24, 0x79, v4
	v_cmp_eq_u32_e32 vcc, 0, v4
	v_cndmask_b32_e64 v24, 0, v24, s[16:17]
	v_or_b32_e32 v27, 0x800000, v23
	v_cndmask_b32_e32 v26, v24, v8, vcc
	v_cndmask_b32_e32 v23, v27, v23, vcc
	v_add_u32_e32 v27, 20, v26
	v_lshlrev_b64 v[27:28], v27, -1
	v_add_u32_e32 v29, 19, v26
	v_lshlrev_b64 v[29:30], v29, 1
	v_mov_b32_e32 v24, v41
	v_bfi_b32 v28, v28, 0, 0
	v_bfi_b32 v27, v27, 0, v23
	v_cmp_eq_u64_e64 s[16:17], v[27:28], v[29:30]
	v_lshrrev_b64 v[27:28], v26, v[23:24]
	v_mov_b32_e32 v29, v28
	v_mov_b32_e32 v28, v27
	s_and_saveexec_b64 s[76:77], s[16:17]
; %bb.874:                              ;   in Loop: Header=BB4_738 Depth=2
	v_bfe_u32 v23, v27, 20, 1
	v_add_co_u32_e64 v23, s[16:17], v27, v23
	v_add_co_u32_e64 v28, s[16:17], -1, v23
; %bb.875:                              ;   in Loop: Header=BB4_738 Depth=2
	s_or_b64 exec, exec, s[76:77]
	v_add_u32_e32 v4, 0xffffff81, v4
	v_cndmask_b32_e32 v4, v4, v54, vcc
	v_lshrrev_b32_e32 v23, 23, v27
	v_add3_u32 v24, v26, v4, v23
	v_add_u32_e32 v23, 6, v24
	v_and_b32_e32 v4, 0xfffff, v28
	v_add_u32_e32 v27, v4, v27
	v_mov_b32_e32 v28, v41
	v_cmp_ne_u32_e32 vcc, 0, v23
                                        ; implicit-def: $vgpr4
	s_and_saveexec_b64 s[16:17], vcc
	s_xor_b64 s[16:17], exec, s[16:17]
; %bb.876:                              ;   in Loop: Header=BB4_738 Depth=2
	v_cmp_lt_u64_e32 vcc, s[58:59], v[27:28]
	v_add_u32_e32 v4, 7, v24
	v_cndmask_b32_e32 v4, v23, v4, vcc
	v_cndmask_b32_e64 v23, 0, 1, vcc
	v_lshrrev_b64 v[27:28], v23, v[27:28]
; %bb.877:                              ;   in Loop: Header=BB4_738 Depth=2
	s_andn2_saveexec_b64 s[16:17], s[16:17]
; %bb.878:                              ;   in Loop: Header=BB4_738 Depth=2
	v_bfe_u32 v4, v27, 23, 1
; %bb.879:                              ;   in Loop: Header=BB4_738 Depth=2
	s_or_b64 exec, exec, s[16:17]
	v_lshrrev_b64 v[23:24], 20, v[27:28]
	v_cmp_gt_i32_e32 vcc, 16, v4
	v_cndmask_b32_e32 v24, 0, v24, vcc
	v_cndmask_b32_e32 v23, 7, v23, vcc
	v_cmp_eq_u32_e32 vcc, 0, v4
	v_min_i32_e32 v4, 15, v4
	v_cmp_eq_u64_e64 s[16:17], 0, v[23:24]
	v_lshlrev_b32_e32 v4, 3, v4
	v_and_b32_e32 v4, 0xf8, v4
	v_and_or_b32 v4, v23, 7, v4
	s_and_b64 s[16:17], vcc, s[16:17]
	v_cndmask_b32_e64 v4, v4, 0, s[16:17]
	v_or_b32_e32 v26, v4, v0
.LBB4_880:                              ;   in Loop: Header=BB4_738 Depth=2
	s_or_b64 exec, exec, s[74:75]
                                        ; implicit-def: $vgpr0
.LBB4_881:                              ;   in Loop: Header=BB4_738 Depth=2
	s_andn2_saveexec_b64 s[16:17], s[72:73]
; %bb.882:                              ;   in Loop: Header=BB4_738 Depth=2
	v_or_b32_e32 v26, 0x7e, v0
; %bb.883:                              ;   in Loop: Header=BB4_738 Depth=2
	s_or_b64 exec, exec, s[16:17]
                                        ; implicit-def: $vgpr4
.LBB4_884:                              ;   in Loop: Header=BB4_738 Depth=2
	s_andn2_saveexec_b64 s[16:17], s[62:63]
; %bb.885:                              ;   in Loop: Header=BB4_738 Depth=2
	v_or_b32_sdwa v26, v4, s37 dst_sel:DWORD dst_unused:UNUSED_PAD src0_sel:BYTE_3 src1_sel:DWORD
; %bb.886:                              ;   in Loop: Header=BB4_738 Depth=2
	s_or_b64 exec, exec, s[16:17]
	v_and_b32_sdwa v23, v40, s35 dst_sel:DWORD dst_unused:UNUSED_PAD src0_sel:WORD_1 src1_sel:DWORD
	v_lshrrev_b32_e32 v0, 16, v40
	v_cmp_ne_u16_e32 vcc, 0, v23
	v_mov_b32_e32 v4, 0
	s_and_saveexec_b64 s[16:17], vcc
	s_cbranch_execz .LBB4_892
; %bb.887:                              ;   in Loop: Header=BB4_738 Depth=2
	v_cmp_ne_u16_e32 vcc, s36, v23
	v_bfrev_b32_e32 v4, 1
	s_and_saveexec_b64 s[62:63], vcc
	s_cbranch_execz .LBB4_891
; %bb.888:                              ;   in Loop: Header=BB4_738 Depth=2
	v_bfe_u32 v23, v40, 16, 7
	v_cmp_ne_u32_e32 vcc, s37, v23
	v_mov_b32_e32 v4, 0x7f800001
	s_and_saveexec_b64 s[72:73], vcc
	s_cbranch_execz .LBB4_890
; %bb.889:                              ;   in Loop: Header=BB4_738 Depth=2
	v_and_b32_e32 v4, 7, v0
	v_lshrrev_b32_e32 v27, 3, v23
	v_cmp_gt_u32_e32 vcc, 8, v23
	v_ffbh_u32_e32 v23, v4
	v_min_u32_e32 v28, 32, v23
	v_subrev_u32_e32 v23, 28, v28
	v_lshlrev_b64 v[23:24], v23, v[0:1]
	v_sub_u32_e32 v0, 29, v28
	v_and_b32_e32 v23, 7, v23
	v_cndmask_b32_e32 v0, v27, v0, vcc
	v_cndmask_b32_e32 v4, v4, v23, vcc
	v_lshlrev_b32_sdwa v23, v55, v40 dst_sel:DWORD dst_unused:UNUSED_PAD src0_sel:DWORD src1_sel:WORD_1
	v_lshlrev_b32_e32 v4, 20, v4
	v_and_b32_e32 v23, 0x80000000, v23
	v_lshl_add_u32 v0, v0, 23, v7
	v_or3_b32 v4, v23, v0, v4
.LBB4_890:                              ;   in Loop: Header=BB4_738 Depth=2
	s_or_b64 exec, exec, s[72:73]
.LBB4_891:                              ;   in Loop: Header=BB4_738 Depth=2
	s_or_b64 exec, exec, s[62:63]
.LBB4_892:                              ;   in Loop: Header=BB4_738 Depth=2
	s_or_b64 exec, exec, s[16:17]
	v_mul_f32_e32 v4, v62, v4
	v_and_b32_e32 v23, 0x7f800000, v4
	v_mov_b32_e32 v24, v41
	v_cmp_ne_u64_e32 vcc, s[46:47], v[23:24]
                                        ; implicit-def: $vgpr30
	s_and_saveexec_b64 s[16:17], vcc
	s_xor_b64 s[62:63], exec, s[16:17]
	s_cbranch_execz .LBB4_906
; %bb.893:                              ;   in Loop: Header=BB4_738 Depth=2
	v_and_b32_e32 v23, 0x7fffffff, v4
	v_mov_b32_e32 v24, v41
	v_cmp_gt_u64_e32 vcc, s[56:57], v[23:24]
	v_and_b32_sdwa v0, v4, s36 dst_sel:DWORD dst_unused:UNUSED_PAD src0_sel:BYTE_3 src1_sel:DWORD
                                        ; implicit-def: $vgpr30
	s_and_saveexec_b64 s[16:17], vcc
	s_xor_b64 s[72:73], exec, s[16:17]
	s_cbranch_execz .LBB4_903
; %bb.894:                              ;   in Loop: Header=BB4_738 Depth=2
	v_mov_b32_e32 v30, 0
	v_cmp_ne_u32_e32 vcc, 0, v4
	s_and_saveexec_b64 s[74:75], vcc
	s_cbranch_execz .LBB4_902
; %bb.895:                              ;   in Loop: Header=BB4_738 Depth=2
	v_and_b32_e32 v23, 0x7fffff, v4
	v_bfe_u32 v4, v4, 23, 8
	v_cmp_gt_u32_e64 s[16:17], s38, v4
	v_sub_u32_e32 v24, 0x79, v4
	v_cmp_eq_u32_e32 vcc, 0, v4
	v_cndmask_b32_e64 v24, 0, v24, s[16:17]
	v_or_b32_e32 v27, 0x800000, v23
	v_cndmask_b32_e32 v30, v24, v8, vcc
	v_cndmask_b32_e32 v23, v27, v23, vcc
	v_add_u32_e32 v27, 20, v30
	v_lshlrev_b64 v[27:28], v27, -1
	v_add_u32_e32 v29, 19, v30
	v_lshlrev_b64 v[44:45], v29, 1
	v_mov_b32_e32 v24, v41
	v_bfi_b32 v28, v28, 0, 0
	v_bfi_b32 v27, v27, 0, v23
	v_cmp_eq_u64_e64 s[16:17], v[27:28], v[44:45]
	v_lshrrev_b64 v[27:28], v30, v[23:24]
	v_mov_b32_e32 v29, v28
	v_mov_b32_e32 v28, v27
	s_and_saveexec_b64 s[76:77], s[16:17]
; %bb.896:                              ;   in Loop: Header=BB4_738 Depth=2
	v_bfe_u32 v23, v27, 20, 1
	v_add_co_u32_e64 v23, s[16:17], v27, v23
	v_add_co_u32_e64 v28, s[16:17], -1, v23
; %bb.897:                              ;   in Loop: Header=BB4_738 Depth=2
	s_or_b64 exec, exec, s[76:77]
	v_add_u32_e32 v4, 0xffffff81, v4
	v_cndmask_b32_e32 v4, v4, v54, vcc
	v_lshrrev_b32_e32 v23, 23, v27
	v_add3_u32 v24, v30, v4, v23
	v_add_u32_e32 v23, 6, v24
	v_and_b32_e32 v4, 0xfffff, v28
	v_add_u32_e32 v27, v4, v27
	v_mov_b32_e32 v28, v41
	v_cmp_ne_u32_e32 vcc, 0, v23
                                        ; implicit-def: $vgpr4
	s_and_saveexec_b64 s[16:17], vcc
	s_xor_b64 s[16:17], exec, s[16:17]
; %bb.898:                              ;   in Loop: Header=BB4_738 Depth=2
	v_cmp_lt_u64_e32 vcc, s[58:59], v[27:28]
	v_add_u32_e32 v4, 7, v24
	v_cndmask_b32_e32 v4, v23, v4, vcc
	v_cndmask_b32_e64 v23, 0, 1, vcc
	v_lshrrev_b64 v[27:28], v23, v[27:28]
; %bb.899:                              ;   in Loop: Header=BB4_738 Depth=2
	s_andn2_saveexec_b64 s[16:17], s[16:17]
; %bb.900:                              ;   in Loop: Header=BB4_738 Depth=2
	v_bfe_u32 v4, v27, 23, 1
; %bb.901:                              ;   in Loop: Header=BB4_738 Depth=2
	s_or_b64 exec, exec, s[16:17]
	v_lshrrev_b64 v[23:24], 20, v[27:28]
	v_cmp_gt_i32_e32 vcc, 16, v4
	v_cndmask_b32_e32 v24, 0, v24, vcc
	v_cndmask_b32_e32 v23, 7, v23, vcc
	v_cmp_eq_u32_e32 vcc, 0, v4
	v_min_i32_e32 v4, 15, v4
	v_cmp_eq_u64_e64 s[16:17], 0, v[23:24]
	v_lshlrev_b32_e32 v4, 3, v4
	v_and_b32_e32 v4, 0xf8, v4
	v_and_or_b32 v4, v23, 7, v4
	s_and_b64 s[16:17], vcc, s[16:17]
	v_cndmask_b32_e64 v4, v4, 0, s[16:17]
	v_or_b32_e32 v30, v4, v0
.LBB4_902:                              ;   in Loop: Header=BB4_738 Depth=2
	s_or_b64 exec, exec, s[74:75]
                                        ; implicit-def: $vgpr0
.LBB4_903:                              ;   in Loop: Header=BB4_738 Depth=2
	s_andn2_saveexec_b64 s[16:17], s[72:73]
; %bb.904:                              ;   in Loop: Header=BB4_738 Depth=2
	v_or_b32_e32 v30, 0x7e, v0
; %bb.905:                              ;   in Loop: Header=BB4_738 Depth=2
	s_or_b64 exec, exec, s[16:17]
                                        ; implicit-def: $vgpr4
.LBB4_906:                              ;   in Loop: Header=BB4_738 Depth=2
	s_andn2_saveexec_b64 s[16:17], s[62:63]
; %bb.907:                              ;   in Loop: Header=BB4_738 Depth=2
	v_or_b32_sdwa v30, v4, s37 dst_sel:DWORD dst_unused:UNUSED_PAD src0_sel:BYTE_3 src1_sel:DWORD
; %bb.908:                              ;   in Loop: Header=BB4_738 Depth=2
	s_or_b64 exec, exec, s[16:17]
	v_cmp_lt_u32_e32 vcc, s39, v40
	v_mov_b32_e32 v4, 0
	s_and_saveexec_b64 s[16:17], vcc
	s_cbranch_execz .LBB4_914
; %bb.909:                              ;   in Loop: Header=BB4_738 Depth=2
	v_lshrrev_b32_e32 v0, 24, v40
	v_cmp_ne_u32_sdwa s[72:73], v40, s36 src0_sel:BYTE_3 src1_sel:DWORD
	v_bfrev_b32_e32 v4, 1
	s_and_saveexec_b64 s[62:63], s[72:73]
	s_cbranch_execz .LBB4_913
; %bb.910:                              ;   in Loop: Header=BB4_738 Depth=2
	v_bfe_u32 v23, v40, 24, 7
	v_cmp_ne_u32_e32 vcc, s37, v23
	v_mov_b32_e32 v4, 0x7f800001
	s_and_saveexec_b64 s[72:73], vcc
	s_cbranch_execz .LBB4_912
; %bb.911:                              ;   in Loop: Header=BB4_738 Depth=2
	v_and_b32_e32 v4, 7, v0
	v_lshrrev_b32_e32 v27, 3, v23
	v_cmp_gt_u32_e32 vcc, 8, v23
	v_ffbh_u32_e32 v23, v4
	v_min_u32_e32 v28, 32, v23
	v_subrev_u32_e32 v23, 28, v28
	v_lshlrev_b64 v[23:24], v23, v[0:1]
	v_sub_u32_e32 v0, 29, v28
	v_and_b32_e32 v23, 7, v23
	v_cndmask_b32_e32 v0, v27, v0, vcc
	v_cndmask_b32_e32 v4, v4, v23, vcc
	v_lshlrev_b32_sdwa v23, v55, v40 dst_sel:DWORD dst_unused:UNUSED_PAD src0_sel:DWORD src1_sel:BYTE_3
	v_lshlrev_b32_e32 v4, 20, v4
	v_and_b32_e32 v23, 0x80000000, v23
	v_lshl_add_u32 v0, v0, 23, v7
	v_or3_b32 v4, v23, v0, v4
.LBB4_912:                              ;   in Loop: Header=BB4_738 Depth=2
	s_or_b64 exec, exec, s[72:73]
.LBB4_913:                              ;   in Loop: Header=BB4_738 Depth=2
	s_or_b64 exec, exec, s[62:63]
.LBB4_914:                              ;   in Loop: Header=BB4_738 Depth=2
	s_or_b64 exec, exec, s[16:17]
	v_mul_f32_e32 v4, v62, v4
	v_and_b32_e32 v40, 0x7f800000, v4
	v_cmp_ne_u64_e32 vcc, s[46:47], v[40:41]
                                        ; implicit-def: $vgpr32
	s_and_saveexec_b64 s[16:17], vcc
	s_xor_b64 s[62:63], exec, s[16:17]
	s_cbranch_execz .LBB4_928
; %bb.915:                              ;   in Loop: Header=BB4_738 Depth=2
	v_and_b32_e32 v40, 0x7fffffff, v4
	v_cmp_gt_u64_e32 vcc, s[56:57], v[40:41]
	v_and_b32_sdwa v0, v4, s36 dst_sel:DWORD dst_unused:UNUSED_PAD src0_sel:BYTE_3 src1_sel:DWORD
                                        ; implicit-def: $vgpr32
	s_and_saveexec_b64 s[16:17], vcc
	s_xor_b64 s[72:73], exec, s[16:17]
	s_cbranch_execz .LBB4_925
; %bb.916:                              ;   in Loop: Header=BB4_738 Depth=2
	v_mov_b32_e32 v32, 0
	v_cmp_ne_u32_e32 vcc, 0, v4
	s_and_saveexec_b64 s[74:75], vcc
	s_cbranch_execz .LBB4_924
; %bb.917:                              ;   in Loop: Header=BB4_738 Depth=2
	v_and_b32_e32 v23, 0x7fffff, v4
	v_bfe_u32 v4, v4, 23, 8
	v_cmp_gt_u32_e64 s[16:17], s38, v4
	v_sub_u32_e32 v24, 0x79, v4
	v_cmp_eq_u32_e32 vcc, 0, v4
	v_cndmask_b32_e64 v24, 0, v24, s[16:17]
	v_or_b32_e32 v27, 0x800000, v23
	v_cndmask_b32_e32 v32, v24, v8, vcc
	v_cndmask_b32_e32 v40, v27, v23, vcc
	v_add_u32_e32 v23, 20, v32
	v_lshlrev_b64 v[23:24], v23, -1
	v_add_u32_e32 v27, 19, v32
	v_lshlrev_b64 v[27:28], v27, 1
	v_bfi_b32 v24, v24, 0, 0
	v_bfi_b32 v23, v23, 0, v40
	v_cmp_eq_u64_e64 s[16:17], v[23:24], v[27:28]
	v_lshrrev_b64 v[27:28], v32, v[40:41]
	v_mov_b32_e32 v29, v28
	v_mov_b32_e32 v28, v27
	s_and_saveexec_b64 s[76:77], s[16:17]
; %bb.918:                              ;   in Loop: Header=BB4_738 Depth=2
	v_bfe_u32 v23, v27, 20, 1
	v_add_co_u32_e64 v23, s[16:17], v27, v23
	v_add_co_u32_e64 v28, s[16:17], -1, v23
; %bb.919:                              ;   in Loop: Header=BB4_738 Depth=2
	s_or_b64 exec, exec, s[76:77]
	v_add_u32_e32 v4, 0xffffff81, v4
	v_cndmask_b32_e32 v4, v4, v54, vcc
	v_lshrrev_b32_e32 v23, 23, v27
	v_add3_u32 v24, v32, v4, v23
	v_add_u32_e32 v23, 6, v24
	v_and_b32_e32 v4, 0xfffff, v28
	v_add_u32_e32 v40, v4, v27
	v_cmp_ne_u32_e32 vcc, 0, v23
                                        ; implicit-def: $vgpr27_vgpr28
                                        ; implicit-def: $vgpr4
	s_and_saveexec_b64 s[16:17], vcc
	s_xor_b64 s[16:17], exec, s[16:17]
; %bb.920:                              ;   in Loop: Header=BB4_738 Depth=2
	v_cmp_lt_u64_e32 vcc, s[58:59], v[40:41]
	v_add_u32_e32 v4, 7, v24
	v_cndmask_b32_e32 v4, v23, v4, vcc
	v_cndmask_b32_e64 v23, 0, 1, vcc
	v_lshrrev_b64 v[27:28], v23, v[40:41]
; %bb.921:                              ;   in Loop: Header=BB4_738 Depth=2
	s_andn2_saveexec_b64 s[16:17], s[16:17]
; %bb.922:                              ;   in Loop: Header=BB4_738 Depth=2
	v_mov_b32_e32 v27, v40
	v_bfe_u32 v4, v40, 23, 1
	v_mov_b32_e32 v28, v41
; %bb.923:                              ;   in Loop: Header=BB4_738 Depth=2
	s_or_b64 exec, exec, s[16:17]
	v_lshrrev_b64 v[23:24], 20, v[27:28]
	v_cmp_gt_i32_e32 vcc, 16, v4
	v_cndmask_b32_e32 v24, 0, v24, vcc
	v_cndmask_b32_e32 v23, 7, v23, vcc
	v_cmp_eq_u32_e32 vcc, 0, v4
	v_min_i32_e32 v4, 15, v4
	v_cmp_eq_u64_e64 s[16:17], 0, v[23:24]
	v_lshlrev_b32_e32 v4, 3, v4
	v_and_b32_e32 v4, 0xf8, v4
	v_and_or_b32 v4, v23, 7, v4
	s_and_b64 s[16:17], vcc, s[16:17]
	v_cndmask_b32_e64 v4, v4, 0, s[16:17]
	v_or_b32_e32 v32, v4, v0
.LBB4_924:                              ;   in Loop: Header=BB4_738 Depth=2
	s_or_b64 exec, exec, s[74:75]
                                        ; implicit-def: $vgpr0
.LBB4_925:                              ;   in Loop: Header=BB4_738 Depth=2
	s_andn2_saveexec_b64 s[16:17], s[72:73]
; %bb.926:                              ;   in Loop: Header=BB4_738 Depth=2
	v_or_b32_e32 v32, 0x7e, v0
; %bb.927:                              ;   in Loop: Header=BB4_738 Depth=2
	s_or_b64 exec, exec, s[16:17]
                                        ; implicit-def: $vgpr4
.LBB4_928:                              ;   in Loop: Header=BB4_738 Depth=2
	s_andn2_saveexec_b64 s[16:17], s[62:63]
; %bb.929:                              ;   in Loop: Header=BB4_738 Depth=2
	v_or_b32_sdwa v32, v4, s37 dst_sel:DWORD dst_unused:UNUSED_PAD src0_sel:BYTE_3 src1_sel:DWORD
; %bb.930:                              ;   in Loop: Header=BB4_738 Depth=2
	s_or_b64 exec, exec, s[16:17]
	s_waitcnt vmcnt(0)
	v_cmp_ne_u16_sdwa s[62:63], v17, v41 src0_sel:BYTE_0 src1_sel:DWORD
	v_mov_b32_e32 v0, 0
	v_mov_b32_e32 v27, 0
	s_and_saveexec_b64 s[16:17], s[62:63]
	s_cbranch_execz .LBB4_936
; %bb.931:                              ;   in Loop: Header=BB4_738 Depth=2
	v_cmp_ne_u16_sdwa s[72:73], v17, s36 src0_sel:BYTE_0 src1_sel:DWORD
	v_bfrev_b32_e32 v27, 1
	s_and_saveexec_b64 s[62:63], s[72:73]
	s_cbranch_execz .LBB4_935
; %bb.932:                              ;   in Loop: Header=BB4_738 Depth=2
	v_and_b32_e32 v4, 0x7f, v17
	v_cmp_ne_u32_e32 vcc, s37, v4
	v_mov_b32_e32 v27, 0x7f800001
	s_and_saveexec_b64 s[72:73], vcc
	s_cbranch_execz .LBB4_934
; %bb.933:                              ;   in Loop: Header=BB4_738 Depth=2
	v_and_b32_e32 v23, 7, v17
	v_lshrrev_b32_e32 v24, 3, v4
	v_cmp_gt_u32_e32 vcc, 8, v4
	v_ffbh_u32_e32 v4, v23
	v_min_u32_e32 v4, 32, v4
	v_subrev_u32_e32 v23, 28, v4
	v_sub_u32_e32 v4, 29, v4
	v_cndmask_b32_e32 v23, 0, v23, vcc
	v_cndmask_b32_e32 v4, v24, v4, vcc
	v_lshlrev_b64 v[23:24], v23, v[17:18]
	v_lshl_add_u32 v4, v4, 23, v7
	v_lshlrev_b32_e32 v18, 20, v23
	v_lshlrev_b32_e32 v23, 24, v17
	v_and_b32_e32 v18, 0x700000, v18
	v_and_b32_e32 v23, 0x80000000, v23
	v_or3_b32 v27, v23, v4, v18
.LBB4_934:                              ;   in Loop: Header=BB4_738 Depth=2
	s_or_b64 exec, exec, s[72:73]
.LBB4_935:                              ;   in Loop: Header=BB4_738 Depth=2
	s_or_b64 exec, exec, s[62:63]
.LBB4_936:                              ;   in Loop: Header=BB4_738 Depth=2
	s_or_b64 exec, exec, s[16:17]
	v_lshl_or_b32 v4, v11, 8, v9
	v_lshlrev_b32_e32 v11, 16, v31
	v_lshlrev_b32_e32 v18, 24, v33
	v_or3_b32 v40, v11, v18, v4
	v_cmp_ne_u32_e32 vcc, 0, v9
	s_and_saveexec_b64 s[16:17], vcc
	s_cbranch_execz .LBB4_942
; %bb.937:                              ;   in Loop: Header=BB4_738 Depth=2
	v_cmp_ne_u32_e32 vcc, s36, v9
	v_bfrev_b32_e32 v0, 1
	s_and_saveexec_b64 s[62:63], vcc
	s_cbranch_execz .LBB4_941
; %bb.938:                              ;   in Loop: Header=BB4_738 Depth=2
	v_and_b32_e32 v11, 0x7f, v9
	v_cmp_ne_u32_e32 vcc, s37, v11
	v_mov_b32_e32 v0, 0x7f800001
	s_and_saveexec_b64 s[72:73], vcc
	s_cbranch_execz .LBB4_940
; %bb.939:                              ;   in Loop: Header=BB4_738 Depth=2
	v_and_b32_e32 v0, 7, v9
	v_ffbh_u32_e32 v0, v0
	v_min_u32_e32 v0, 32, v0
	v_lshrrev_b32_e32 v9, 3, v11
	v_cmp_gt_u32_e32 vcc, 8, v11
	v_subrev_u32_e32 v11, 28, v0
	v_sub_u32_e32 v0, 29, v0
	v_cndmask_b32_e32 v0, v9, v0, vcc
	v_cndmask_b32_e32 v9, 0, v11, vcc
	v_lshlrev_b64 v[23:24], v9, v[40:41]
	v_lshlrev_b32_e32 v11, 24, v40
	v_lshlrev_b32_e32 v9, 20, v23
	v_and_b32_e32 v9, 0x700000, v9
	v_and_b32_e32 v11, 0x80000000, v11
	v_lshl_add_u32 v0, v0, 23, v7
	v_or3_b32 v0, v11, v0, v9
.LBB4_940:                              ;   in Loop: Header=BB4_738 Depth=2
	s_or_b64 exec, exec, s[72:73]
.LBB4_941:                              ;   in Loop: Header=BB4_738 Depth=2
	s_or_b64 exec, exec, s[62:63]
.LBB4_942:                              ;   in Loop: Header=BB4_738 Depth=2
	s_or_b64 exec, exec, s[16:17]
	v_add_f32_e32 v11, v27, v0
	v_and_b32_e32 v23, 0x7f800000, v11
	v_mov_b32_e32 v24, v41
	v_cmp_ne_u64_e32 vcc, s[46:47], v[23:24]
                                        ; implicit-def: $vgpr9
	s_and_saveexec_b64 s[16:17], vcc
	s_xor_b64 s[62:63], exec, s[16:17]
	s_cbranch_execz .LBB4_956
; %bb.943:                              ;   in Loop: Header=BB4_738 Depth=2
	v_and_b32_e32 v23, 0x7fffffff, v11
	v_mov_b32_e32 v24, v41
	v_cmp_gt_u64_e32 vcc, s[56:57], v[23:24]
	v_and_b32_sdwa v0, v11, s36 dst_sel:DWORD dst_unused:UNUSED_PAD src0_sel:BYTE_3 src1_sel:DWORD
                                        ; implicit-def: $vgpr9
	s_and_saveexec_b64 s[16:17], vcc
	s_xor_b64 s[72:73], exec, s[16:17]
	s_cbranch_execz .LBB4_953
; %bb.944:                              ;   in Loop: Header=BB4_738 Depth=2
	v_mov_b32_e32 v9, 0
	v_cmp_ne_u32_e32 vcc, 0, v11
	s_and_saveexec_b64 s[74:75], vcc
	s_cbranch_execz .LBB4_952
; %bb.945:                              ;   in Loop: Header=BB4_738 Depth=2
	v_bfe_u32 v9, v11, 23, 8
	v_and_b32_e32 v18, 0x7fffff, v11
	v_cmp_gt_u32_e64 s[16:17], s38, v9
	v_sub_u32_e32 v11, 0x79, v9
	v_cmp_eq_u32_e32 vcc, 0, v9
	v_cndmask_b32_e64 v11, 0, v11, s[16:17]
	v_or_b32_e32 v23, 0x800000, v18
	v_cndmask_b32_e32 v11, v11, v8, vcc
	v_cndmask_b32_e32 v23, v23, v18, vcc
	v_add_u32_e32 v18, 20, v11
	v_lshlrev_b64 v[27:28], v18, -1
	v_add_u32_e32 v18, 19, v11
	v_lshlrev_b64 v[44:45], v18, 1
	v_mov_b32_e32 v24, v41
	v_bfi_b32 v28, v28, 0, 0
	v_bfi_b32 v27, v27, 0, v23
	v_cmp_eq_u64_e64 s[16:17], v[27:28], v[44:45]
	v_lshrrev_b64 v[27:28], v11, v[23:24]
	v_mov_b32_e32 v29, v28
	v_mov_b32_e32 v28, v27
	s_and_saveexec_b64 s[76:77], s[16:17]
; %bb.946:                              ;   in Loop: Header=BB4_738 Depth=2
	v_bfe_u32 v18, v27, 20, 1
	v_add_co_u32_e64 v18, s[16:17], v27, v18
	v_add_co_u32_e64 v28, s[16:17], -1, v18
; %bb.947:                              ;   in Loop: Header=BB4_738 Depth=2
	s_or_b64 exec, exec, s[76:77]
	v_add_u32_e32 v9, 0xffffff81, v9
	v_cndmask_b32_e32 v9, v9, v54, vcc
	v_lshrrev_b32_e32 v18, 23, v27
	v_add3_u32 v18, v11, v9, v18
	v_add_u32_e32 v11, 6, v18
	v_and_b32_e32 v9, 0xfffff, v28
	v_add_u32_e32 v27, v9, v27
	v_mov_b32_e32 v28, v41
	v_cmp_ne_u32_e32 vcc, 0, v11
                                        ; implicit-def: $vgpr9
	s_and_saveexec_b64 s[16:17], vcc
	s_xor_b64 s[16:17], exec, s[16:17]
; %bb.948:                              ;   in Loop: Header=BB4_738 Depth=2
	v_cmp_lt_u64_e32 vcc, s[58:59], v[27:28]
	v_add_u32_e32 v9, 7, v18
	v_cndmask_b32_e32 v9, v11, v9, vcc
	v_cndmask_b32_e64 v11, 0, 1, vcc
	v_lshrrev_b64 v[27:28], v11, v[27:28]
; %bb.949:                              ;   in Loop: Header=BB4_738 Depth=2
	s_andn2_saveexec_b64 s[16:17], s[16:17]
; %bb.950:                              ;   in Loop: Header=BB4_738 Depth=2
	v_bfe_u32 v9, v27, 23, 1
; %bb.951:                              ;   in Loop: Header=BB4_738 Depth=2
	s_or_b64 exec, exec, s[16:17]
	v_lshrrev_b64 v[23:24], 20, v[27:28]
	v_cmp_gt_i32_e32 vcc, 16, v9
	v_cndmask_b32_e32 v24, 0, v24, vcc
	v_cndmask_b32_e32 v23, 7, v23, vcc
	v_cmp_eq_u32_e32 vcc, 0, v9
	v_min_i32_e32 v9, 15, v9
	v_cmp_eq_u64_e64 s[16:17], 0, v[23:24]
	v_lshlrev_b32_e32 v9, 3, v9
	v_and_b32_e32 v9, 0xf8, v9
	v_and_or_b32 v9, v23, 7, v9
	s_and_b64 s[16:17], vcc, s[16:17]
	v_cndmask_b32_e64 v9, v9, 0, s[16:17]
	v_or_b32_e32 v9, v9, v0
.LBB4_952:                              ;   in Loop: Header=BB4_738 Depth=2
	s_or_b64 exec, exec, s[74:75]
                                        ; implicit-def: $vgpr0
.LBB4_953:                              ;   in Loop: Header=BB4_738 Depth=2
	s_andn2_saveexec_b64 s[16:17], s[72:73]
; %bb.954:                              ;   in Loop: Header=BB4_738 Depth=2
	v_or_b32_e32 v9, 0x7e, v0
; %bb.955:                              ;   in Loop: Header=BB4_738 Depth=2
	s_or_b64 exec, exec, s[16:17]
                                        ; implicit-def: $vgpr11
.LBB4_956:                              ;   in Loop: Header=BB4_738 Depth=2
	s_andn2_saveexec_b64 s[16:17], s[62:63]
; %bb.957:                              ;   in Loop: Header=BB4_738 Depth=2
	v_or_b32_sdwa v9, v11, s37 dst_sel:DWORD dst_unused:UNUSED_PAD src0_sel:BYTE_3 src1_sel:DWORD
; %bb.958:                              ;   in Loop: Header=BB4_738 Depth=2
	s_or_b64 exec, exec, s[16:17]
	v_lshrrev_b16_e32 v0, 8, v17
	v_cmp_ne_u16_e32 vcc, 0, v0
	v_mov_b32_e32 v11, 0
	v_mov_b32_e32 v18, 0
	s_and_saveexec_b64 s[16:17], vcc
	s_cbranch_execz .LBB4_964
; %bb.959:                              ;   in Loop: Header=BB4_738 Depth=2
	v_cmp_ne_u16_e32 vcc, s36, v0
	v_bfrev_b32_e32 v18, 1
	s_and_saveexec_b64 s[62:63], vcc
	s_cbranch_execz .LBB4_963
; %bb.960:                              ;   in Loop: Header=BB4_738 Depth=2
	v_and_b32_e32 v23, 0x7f, v0
	v_cmp_ne_u32_e32 vcc, s37, v23
	v_mov_b32_e32 v18, 0x7f800001
	s_and_saveexec_b64 s[72:73], vcc
	s_cbranch_execz .LBB4_962
; %bb.961:                              ;   in Loop: Header=BB4_738 Depth=2
	v_and_b32_e32 v18, 7, v0
	v_lshrrev_b32_e32 v27, 3, v23
	v_cmp_gt_u32_e32 vcc, 8, v23
	v_ffbh_u32_e32 v23, v18
	v_min_u32_e32 v28, 32, v23
	v_subrev_u32_e32 v23, 28, v28
	v_lshlrev_b64 v[23:24], v23, v[0:1]
	v_sub_u32_e32 v0, 29, v28
	v_and_b32_e32 v23, 7, v23
	v_cndmask_b32_e32 v0, v27, v0, vcc
	v_cndmask_b32_e32 v18, v18, v23, vcc
	v_lshlrev_b32_e32 v23, 16, v17
	v_lshlrev_b32_e32 v18, 20, v18
	v_and_b32_e32 v23, 0x80000000, v23
	v_lshl_add_u32 v0, v0, 23, v7
	v_or3_b32 v18, v23, v0, v18
.LBB4_962:                              ;   in Loop: Header=BB4_738 Depth=2
	s_or_b64 exec, exec, s[72:73]
.LBB4_963:                              ;   in Loop: Header=BB4_738 Depth=2
	s_or_b64 exec, exec, s[62:63]
.LBB4_964:                              ;   in Loop: Header=BB4_738 Depth=2
	s_or_b64 exec, exec, s[16:17]
	v_lshrrev_b16_e32 v0, 8, v4
	v_cmp_ne_u16_e32 vcc, 0, v0
	s_and_saveexec_b64 s[16:17], vcc
	s_cbranch_execz .LBB4_970
; %bb.965:                              ;   in Loop: Header=BB4_738 Depth=2
	v_cmp_ne_u16_e32 vcc, s36, v0
	v_bfrev_b32_e32 v11, 1
	s_and_saveexec_b64 s[62:63], vcc
	s_cbranch_execz .LBB4_969
; %bb.966:                              ;   in Loop: Header=BB4_738 Depth=2
	v_and_b32_e32 v23, 0x7f, v0
	v_cmp_ne_u32_e32 vcc, s37, v23
	v_mov_b32_e32 v11, 0x7f800001
	s_and_saveexec_b64 s[72:73], vcc
	s_cbranch_execz .LBB4_968
; %bb.967:                              ;   in Loop: Header=BB4_738 Depth=2
	v_and_b32_e32 v11, 7, v0
	v_lshrrev_b32_e32 v27, 3, v23
	v_cmp_gt_u32_e32 vcc, 8, v23
	v_ffbh_u32_e32 v23, v11
	v_min_u32_e32 v28, 32, v23
	v_subrev_u32_e32 v23, 28, v28
	v_lshlrev_b64 v[23:24], v23, v[0:1]
	v_sub_u32_e32 v0, 29, v28
	v_and_b32_e32 v23, 7, v23
	v_cndmask_b32_e32 v0, v27, v0, vcc
	v_cndmask_b32_e32 v11, v11, v23, vcc
	v_lshlrev_b32_e32 v4, 16, v4
	v_lshlrev_b32_e32 v11, 20, v11
	v_and_b32_e32 v4, 0x80000000, v4
	v_lshl_add_u32 v0, v0, 23, v7
	v_or3_b32 v11, v4, v0, v11
.LBB4_968:                              ;   in Loop: Header=BB4_738 Depth=2
	s_or_b64 exec, exec, s[72:73]
.LBB4_969:                              ;   in Loop: Header=BB4_738 Depth=2
	s_or_b64 exec, exec, s[62:63]
.LBB4_970:                              ;   in Loop: Header=BB4_738 Depth=2
	s_or_b64 exec, exec, s[16:17]
	v_add_f32_e32 v4, v18, v11
	v_and_b32_e32 v23, 0x7f800000, v4
	v_mov_b32_e32 v24, v41
	v_cmp_ne_u64_e32 vcc, s[46:47], v[23:24]
                                        ; implicit-def: $vgpr11
	s_and_saveexec_b64 s[16:17], vcc
	s_xor_b64 s[62:63], exec, s[16:17]
	s_cbranch_execz .LBB4_984
; %bb.971:                              ;   in Loop: Header=BB4_738 Depth=2
	v_and_b32_e32 v23, 0x7fffffff, v4
	v_mov_b32_e32 v24, v41
	v_cmp_gt_u64_e32 vcc, s[56:57], v[23:24]
	v_and_b32_sdwa v0, v4, s36 dst_sel:DWORD dst_unused:UNUSED_PAD src0_sel:BYTE_3 src1_sel:DWORD
                                        ; implicit-def: $vgpr11
	s_and_saveexec_b64 s[16:17], vcc
	s_xor_b64 s[72:73], exec, s[16:17]
	s_cbranch_execz .LBB4_981
; %bb.972:                              ;   in Loop: Header=BB4_738 Depth=2
	v_mov_b32_e32 v11, 0
	v_cmp_ne_u32_e32 vcc, 0, v4
	s_and_saveexec_b64 s[74:75], vcc
	s_cbranch_execz .LBB4_980
; %bb.973:                              ;   in Loop: Header=BB4_738 Depth=2
	v_and_b32_e32 v18, 0x7fffff, v4
	v_bfe_u32 v4, v4, 23, 8
	v_cmp_gt_u32_e64 s[16:17], s38, v4
	v_sub_u32_e32 v11, 0x79, v4
	v_cmp_eq_u32_e32 vcc, 0, v4
	v_cndmask_b32_e64 v11, 0, v11, s[16:17]
	v_or_b32_e32 v23, 0x800000, v18
	v_cndmask_b32_e32 v11, v11, v8, vcc
	v_cndmask_b32_e32 v23, v23, v18, vcc
	v_add_u32_e32 v18, 20, v11
	v_lshlrev_b64 v[27:28], v18, -1
	v_add_u32_e32 v18, 19, v11
	v_lshlrev_b64 v[44:45], v18, 1
	v_mov_b32_e32 v24, v41
	v_bfi_b32 v28, v28, 0, 0
	v_bfi_b32 v27, v27, 0, v23
	v_cmp_eq_u64_e64 s[16:17], v[27:28], v[44:45]
	v_lshrrev_b64 v[27:28], v11, v[23:24]
	v_mov_b32_e32 v29, v28
	v_mov_b32_e32 v28, v27
	s_and_saveexec_b64 s[76:77], s[16:17]
; %bb.974:                              ;   in Loop: Header=BB4_738 Depth=2
	v_bfe_u32 v18, v27, 20, 1
	v_add_co_u32_e64 v18, s[16:17], v27, v18
	v_add_co_u32_e64 v28, s[16:17], -1, v18
; %bb.975:                              ;   in Loop: Header=BB4_738 Depth=2
	s_or_b64 exec, exec, s[76:77]
	v_add_u32_e32 v4, 0xffffff81, v4
	v_cndmask_b32_e32 v4, v4, v54, vcc
	v_lshrrev_b32_e32 v18, 23, v27
	v_add3_u32 v18, v11, v4, v18
	v_add_u32_e32 v11, 6, v18
	v_and_b32_e32 v4, 0xfffff, v28
	v_add_u32_e32 v27, v4, v27
	v_mov_b32_e32 v28, v41
	v_cmp_ne_u32_e32 vcc, 0, v11
                                        ; implicit-def: $vgpr4
	s_and_saveexec_b64 s[16:17], vcc
	s_xor_b64 s[16:17], exec, s[16:17]
; %bb.976:                              ;   in Loop: Header=BB4_738 Depth=2
	v_cmp_lt_u64_e32 vcc, s[58:59], v[27:28]
	v_add_u32_e32 v4, 7, v18
	v_cndmask_b32_e32 v4, v11, v4, vcc
	v_cndmask_b32_e64 v11, 0, 1, vcc
	v_lshrrev_b64 v[27:28], v11, v[27:28]
; %bb.977:                              ;   in Loop: Header=BB4_738 Depth=2
	s_andn2_saveexec_b64 s[16:17], s[16:17]
; %bb.978:                              ;   in Loop: Header=BB4_738 Depth=2
	v_bfe_u32 v4, v27, 23, 1
; %bb.979:                              ;   in Loop: Header=BB4_738 Depth=2
	s_or_b64 exec, exec, s[16:17]
	v_lshrrev_b64 v[23:24], 20, v[27:28]
	v_cmp_gt_i32_e32 vcc, 16, v4
	v_cndmask_b32_e32 v24, 0, v24, vcc
	v_cndmask_b32_e32 v23, 7, v23, vcc
	v_cmp_eq_u32_e32 vcc, 0, v4
	v_min_i32_e32 v4, 15, v4
	v_cmp_eq_u64_e64 s[16:17], 0, v[23:24]
	v_lshlrev_b32_e32 v4, 3, v4
	v_and_b32_e32 v4, 0xf8, v4
	v_and_or_b32 v4, v23, 7, v4
	s_and_b64 s[16:17], vcc, s[16:17]
	v_cndmask_b32_e64 v4, v4, 0, s[16:17]
	v_or_b32_e32 v11, v4, v0
.LBB4_980:                              ;   in Loop: Header=BB4_738 Depth=2
	s_or_b64 exec, exec, s[74:75]
                                        ; implicit-def: $vgpr0
.LBB4_981:                              ;   in Loop: Header=BB4_738 Depth=2
	s_andn2_saveexec_b64 s[16:17], s[72:73]
; %bb.982:                              ;   in Loop: Header=BB4_738 Depth=2
	v_or_b32_e32 v11, 0x7e, v0
; %bb.983:                              ;   in Loop: Header=BB4_738 Depth=2
	s_or_b64 exec, exec, s[16:17]
                                        ; implicit-def: $vgpr4
.LBB4_984:                              ;   in Loop: Header=BB4_738 Depth=2
	s_andn2_saveexec_b64 s[16:17], s[62:63]
; %bb.985:                              ;   in Loop: Header=BB4_738 Depth=2
	v_or_b32_sdwa v11, v4, s37 dst_sel:DWORD dst_unused:UNUSED_PAD src0_sel:BYTE_3 src1_sel:DWORD
; %bb.986:                              ;   in Loop: Header=BB4_738 Depth=2
	s_or_b64 exec, exec, s[16:17]
	v_lshrrev_b32_e32 v0, 16, v17
	v_cmp_ne_u16_sdwa s[62:63], v0, v41 src0_sel:BYTE_0 src1_sel:DWORD
	v_mov_b32_e32 v4, 0
	v_mov_b32_e32 v18, 0
	s_and_saveexec_b64 s[16:17], s[62:63]
	s_cbranch_execz .LBB4_992
; %bb.987:                              ;   in Loop: Header=BB4_738 Depth=2
	v_cmp_ne_u16_sdwa s[72:73], v0, s36 src0_sel:BYTE_0 src1_sel:DWORD
	v_bfrev_b32_e32 v18, 1
	s_and_saveexec_b64 s[62:63], s[72:73]
	s_cbranch_execz .LBB4_991
; %bb.988:                              ;   in Loop: Header=BB4_738 Depth=2
	v_bfe_u32 v23, v17, 16, 7
	v_cmp_ne_u32_e32 vcc, s37, v23
	v_mov_b32_e32 v18, 0x7f800001
	s_and_saveexec_b64 s[72:73], vcc
	s_cbranch_execz .LBB4_990
; %bb.989:                              ;   in Loop: Header=BB4_738 Depth=2
	v_and_b32_e32 v18, 7, v0
	v_lshrrev_b32_e32 v27, 3, v23
	v_cmp_gt_u32_e32 vcc, 8, v23
	v_ffbh_u32_e32 v23, v18
	v_min_u32_e32 v28, 32, v23
	v_subrev_u32_e32 v23, 28, v28
	v_lshlrev_b64 v[23:24], v23, v[0:1]
	v_sub_u32_e32 v24, 29, v28
	v_and_b32_e32 v23, 7, v23
	v_cndmask_b32_e32 v24, v27, v24, vcc
	v_cndmask_b32_e32 v18, v18, v23, vcc
	v_lshlrev_b32_e32 v0, 24, v0
	v_lshlrev_b32_e32 v18, 20, v18
	v_and_b32_e32 v0, 0x80000000, v0
	v_lshl_add_u32 v23, v24, 23, v7
	v_or3_b32 v18, v0, v23, v18
.LBB4_990:                              ;   in Loop: Header=BB4_738 Depth=2
	s_or_b64 exec, exec, s[72:73]
.LBB4_991:                              ;   in Loop: Header=BB4_738 Depth=2
	s_or_b64 exec, exec, s[62:63]
.LBB4_992:                              ;   in Loop: Header=BB4_738 Depth=2
	s_or_b64 exec, exec, s[16:17]
	v_and_b32_sdwa v23, v40, s35 dst_sel:DWORD dst_unused:UNUSED_PAD src0_sel:WORD_1 src1_sel:DWORD
	v_lshrrev_b32_e32 v0, 16, v40
	v_cmp_ne_u16_e32 vcc, 0, v23
	s_and_saveexec_b64 s[16:17], vcc
	s_cbranch_execz .LBB4_998
; %bb.993:                              ;   in Loop: Header=BB4_738 Depth=2
	v_cmp_ne_u16_e32 vcc, s36, v23
	v_bfrev_b32_e32 v4, 1
	s_and_saveexec_b64 s[62:63], vcc
	s_cbranch_execz .LBB4_997
; %bb.994:                              ;   in Loop: Header=BB4_738 Depth=2
	v_bfe_u32 v23, v40, 16, 7
	v_cmp_ne_u32_e32 vcc, s37, v23
	v_mov_b32_e32 v4, 0x7f800001
	s_and_saveexec_b64 s[72:73], vcc
	s_cbranch_execz .LBB4_996
; %bb.995:                              ;   in Loop: Header=BB4_738 Depth=2
	v_and_b32_e32 v4, 7, v0
	v_lshrrev_b32_e32 v27, 3, v23
	v_cmp_gt_u32_e32 vcc, 8, v23
	v_ffbh_u32_e32 v23, v4
	v_min_u32_e32 v28, 32, v23
	v_subrev_u32_e32 v23, 28, v28
	v_lshlrev_b64 v[23:24], v23, v[0:1]
	v_sub_u32_e32 v0, 29, v28
	v_and_b32_e32 v23, 7, v23
	v_cndmask_b32_e32 v0, v27, v0, vcc
	v_cndmask_b32_e32 v4, v4, v23, vcc
	v_lshlrev_b32_e32 v23, 8, v40
	v_lshlrev_b32_e32 v4, 20, v4
	v_and_b32_e32 v23, 0x80000000, v23
	v_lshl_add_u32 v0, v0, 23, v7
	v_or3_b32 v4, v23, v0, v4
.LBB4_996:                              ;   in Loop: Header=BB4_738 Depth=2
	s_or_b64 exec, exec, s[72:73]
.LBB4_997:                              ;   in Loop: Header=BB4_738 Depth=2
	s_or_b64 exec, exec, s[62:63]
.LBB4_998:                              ;   in Loop: Header=BB4_738 Depth=2
	s_or_b64 exec, exec, s[16:17]
	v_add_f32_e32 v4, v18, v4
	v_and_b32_e32 v23, 0x7f800000, v4
	v_mov_b32_e32 v24, v41
	v_cmp_ne_u64_e32 vcc, s[46:47], v[23:24]
                                        ; implicit-def: $vgpr29
	s_and_saveexec_b64 s[16:17], vcc
	s_xor_b64 s[62:63], exec, s[16:17]
	s_cbranch_execz .LBB4_1012
; %bb.999:                              ;   in Loop: Header=BB4_738 Depth=2
	v_and_b32_e32 v23, 0x7fffffff, v4
	v_mov_b32_e32 v24, v41
	v_cmp_gt_u64_e32 vcc, s[56:57], v[23:24]
	v_and_b32_sdwa v0, v4, s36 dst_sel:DWORD dst_unused:UNUSED_PAD src0_sel:BYTE_3 src1_sel:DWORD
                                        ; implicit-def: $vgpr29
	s_and_saveexec_b64 s[16:17], vcc
	s_xor_b64 s[72:73], exec, s[16:17]
	s_cbranch_execz .LBB4_1009
; %bb.1000:                             ;   in Loop: Header=BB4_738 Depth=2
	v_mov_b32_e32 v29, 0
	v_cmp_ne_u32_e32 vcc, 0, v4
	s_and_saveexec_b64 s[74:75], vcc
	s_cbranch_execz .LBB4_1008
; %bb.1001:                             ;   in Loop: Header=BB4_738 Depth=2
	v_and_b32_e32 v23, 0x7fffff, v4
	v_bfe_u32 v4, v4, 23, 8
	v_cmp_gt_u32_e64 s[16:17], s38, v4
	v_sub_u32_e32 v18, 0x79, v4
	v_cmp_eq_u32_e32 vcc, 0, v4
	v_cndmask_b32_e64 v18, 0, v18, s[16:17]
	v_cndmask_b32_e32 v18, v18, v8, vcc
	v_add_u32_e32 v27, 20, v18
	v_or_b32_e32 v24, 0x800000, v23
	v_lshlrev_b64 v[27:28], v27, -1
	v_add_u32_e32 v29, 19, v18
	v_cndmask_b32_e32 v23, v24, v23, vcc
	v_lshlrev_b64 v[44:45], v29, 1
	v_mov_b32_e32 v24, v41
	v_bfi_b32 v28, v28, 0, 0
	v_bfi_b32 v27, v27, 0, v23
	v_cmp_eq_u64_e64 s[16:17], v[27:28], v[44:45]
	v_lshrrev_b64 v[27:28], v18, v[23:24]
	v_mov_b32_e32 v29, v28
	v_mov_b32_e32 v28, v27
	s_and_saveexec_b64 s[76:77], s[16:17]
; %bb.1002:                             ;   in Loop: Header=BB4_738 Depth=2
	v_bfe_u32 v23, v27, 20, 1
	v_add_co_u32_e64 v23, s[16:17], v27, v23
	v_add_co_u32_e64 v28, s[16:17], -1, v23
; %bb.1003:                             ;   in Loop: Header=BB4_738 Depth=2
	s_or_b64 exec, exec, s[76:77]
	v_add_u32_e32 v4, 0xffffff81, v4
	v_cndmask_b32_e32 v4, v4, v54, vcc
	v_lshrrev_b32_e32 v23, 23, v27
	v_add3_u32 v23, v18, v4, v23
	v_add_u32_e32 v18, 6, v23
	v_and_b32_e32 v4, 0xfffff, v28
	v_add_u32_e32 v27, v4, v27
	v_mov_b32_e32 v28, v41
	v_cmp_ne_u32_e32 vcc, 0, v18
                                        ; implicit-def: $vgpr4
	s_and_saveexec_b64 s[16:17], vcc
	s_xor_b64 s[16:17], exec, s[16:17]
; %bb.1004:                             ;   in Loop: Header=BB4_738 Depth=2
	v_cmp_lt_u64_e32 vcc, s[58:59], v[27:28]
	v_add_u32_e32 v4, 7, v23
	v_cndmask_b32_e32 v4, v18, v4, vcc
	v_cndmask_b32_e64 v18, 0, 1, vcc
	v_lshrrev_b64 v[27:28], v18, v[27:28]
; %bb.1005:                             ;   in Loop: Header=BB4_738 Depth=2
	s_andn2_saveexec_b64 s[16:17], s[16:17]
; %bb.1006:                             ;   in Loop: Header=BB4_738 Depth=2
	v_bfe_u32 v4, v27, 23, 1
; %bb.1007:                             ;   in Loop: Header=BB4_738 Depth=2
	s_or_b64 exec, exec, s[16:17]
	v_lshrrev_b64 v[23:24], 20, v[27:28]
	v_cmp_gt_i32_e32 vcc, 16, v4
	v_cndmask_b32_e32 v24, 0, v24, vcc
	v_cndmask_b32_e32 v23, 7, v23, vcc
	v_cmp_eq_u32_e32 vcc, 0, v4
	v_min_i32_e32 v4, 15, v4
	v_cmp_eq_u64_e64 s[16:17], 0, v[23:24]
	v_lshlrev_b32_e32 v4, 3, v4
	v_and_b32_e32 v4, 0xf8, v4
	v_and_or_b32 v4, v23, 7, v4
	s_and_b64 s[16:17], vcc, s[16:17]
	v_cndmask_b32_e64 v4, v4, 0, s[16:17]
	v_or_b32_e32 v29, v4, v0
.LBB4_1008:                             ;   in Loop: Header=BB4_738 Depth=2
	s_or_b64 exec, exec, s[74:75]
                                        ; implicit-def: $vgpr0
.LBB4_1009:                             ;   in Loop: Header=BB4_738 Depth=2
	s_andn2_saveexec_b64 s[16:17], s[72:73]
; %bb.1010:                             ;   in Loop: Header=BB4_738 Depth=2
	v_or_b32_e32 v29, 0x7e, v0
; %bb.1011:                             ;   in Loop: Header=BB4_738 Depth=2
	s_or_b64 exec, exec, s[16:17]
                                        ; implicit-def: $vgpr4
.LBB4_1012:                             ;   in Loop: Header=BB4_738 Depth=2
	s_andn2_saveexec_b64 s[16:17], s[62:63]
; %bb.1013:                             ;   in Loop: Header=BB4_738 Depth=2
	v_or_b32_sdwa v29, v4, s37 dst_sel:DWORD dst_unused:UNUSED_PAD src0_sel:BYTE_3 src1_sel:DWORD
; %bb.1014:                             ;   in Loop: Header=BB4_738 Depth=2
	s_or_b64 exec, exec, s[16:17]
	v_cmp_lt_u32_e32 vcc, s39, v17
	v_mov_b32_e32 v4, 0
	v_mov_b32_e32 v18, 0
	s_and_saveexec_b64 s[16:17], vcc
	s_cbranch_execz .LBB4_1020
; %bb.1015:                             ;   in Loop: Header=BB4_738 Depth=2
	v_lshrrev_b32_e32 v0, 24, v17
	v_cmp_ne_u32_e32 vcc, s36, v0
	v_bfrev_b32_e32 v18, 1
	s_and_saveexec_b64 s[62:63], vcc
	s_cbranch_execz .LBB4_1019
; %bb.1016:                             ;   in Loop: Header=BB4_738 Depth=2
	v_bfe_u32 v17, v17, 24, 7
	v_cmp_ne_u32_e32 vcc, s37, v17
	v_mov_b32_e32 v18, 0x7f800001
	s_and_saveexec_b64 s[72:73], vcc
	s_cbranch_execz .LBB4_1018
; %bb.1017:                             ;   in Loop: Header=BB4_738 Depth=2
	v_and_b32_e32 v23, 7, v0
	v_lshrrev_b32_e32 v24, 3, v17
	v_cmp_gt_u32_e32 vcc, 8, v17
	v_ffbh_u32_e32 v17, v23
	v_min_u32_e32 v27, 32, v17
	v_subrev_u32_e32 v17, 28, v27
	v_lshlrev_b64 v[17:18], v17, v[0:1]
	v_sub_u32_e32 v18, 29, v27
	v_and_b32_e32 v17, 7, v17
	v_cndmask_b32_e32 v18, v24, v18, vcc
	v_cndmask_b32_e32 v17, v23, v17, vcc
	v_lshlrev_b32_e32 v0, 24, v0
	v_lshlrev_b32_e32 v17, 20, v17
	v_and_b32_e32 v0, 0x80000000, v0
	v_lshl_add_u32 v18, v18, 23, v7
	v_or3_b32 v18, v0, v18, v17
.LBB4_1018:                             ;   in Loop: Header=BB4_738 Depth=2
	s_or_b64 exec, exec, s[72:73]
.LBB4_1019:                             ;   in Loop: Header=BB4_738 Depth=2
	s_or_b64 exec, exec, s[62:63]
.LBB4_1020:                             ;   in Loop: Header=BB4_738 Depth=2
	s_or_b64 exec, exec, s[16:17]
	v_cmp_lt_u32_e32 vcc, s39, v40
	s_and_saveexec_b64 s[16:17], vcc
	s_cbranch_execz .LBB4_1026
; %bb.1021:                             ;   in Loop: Header=BB4_738 Depth=2
	v_lshrrev_b32_e32 v0, 24, v40
	v_cmp_ne_u32_e32 vcc, s36, v0
	v_bfrev_b32_e32 v4, 1
	s_and_saveexec_b64 s[62:63], vcc
	s_cbranch_execz .LBB4_1025
; %bb.1022:                             ;   in Loop: Header=BB4_738 Depth=2
	v_bfe_u32 v17, v40, 24, 7
	v_cmp_ne_u32_e32 vcc, s37, v17
	v_mov_b32_e32 v4, 0x7f800001
	s_and_saveexec_b64 s[72:73], vcc
	s_cbranch_execz .LBB4_1024
; %bb.1023:                             ;   in Loop: Header=BB4_738 Depth=2
	v_and_b32_e32 v4, 7, v0
	v_lshrrev_b32_e32 v27, 3, v17
	v_cmp_gt_u32_e32 vcc, 8, v17
	v_ffbh_u32_e32 v17, v4
	v_min_u32_e32 v17, 32, v17
	v_subrev_u32_e32 v23, 28, v17
	v_lshlrev_b64 v[23:24], v23, v[0:1]
	v_sub_u32_e32 v17, 29, v17
	v_and_b32_e32 v23, 7, v23
	v_cndmask_b32_e32 v17, v27, v17, vcc
	v_cndmask_b32_e32 v4, v4, v23, vcc
	v_lshlrev_b32_e32 v0, 24, v0
	v_lshlrev_b32_e32 v4, 20, v4
	v_and_b32_e32 v0, 0x80000000, v0
	v_lshl_add_u32 v17, v17, 23, v7
	v_or3_b32 v4, v0, v17, v4
.LBB4_1024:                             ;   in Loop: Header=BB4_738 Depth=2
	s_or_b64 exec, exec, s[72:73]
.LBB4_1025:                             ;   in Loop: Header=BB4_738 Depth=2
	s_or_b64 exec, exec, s[62:63]
.LBB4_1026:                             ;   in Loop: Header=BB4_738 Depth=2
	s_or_b64 exec, exec, s[16:17]
	v_add_f32_e32 v4, v18, v4
	v_and_b32_e32 v40, 0x7f800000, v4
	v_cmp_ne_u64_e32 vcc, s[46:47], v[40:41]
                                        ; implicit-def: $vgpr31
	s_and_saveexec_b64 s[16:17], vcc
	s_xor_b64 s[62:63], exec, s[16:17]
	s_cbranch_execz .LBB4_1040
; %bb.1027:                             ;   in Loop: Header=BB4_738 Depth=2
	v_and_b32_e32 v40, 0x7fffffff, v4
	v_cmp_gt_u64_e32 vcc, s[56:57], v[40:41]
	v_and_b32_sdwa v0, v4, s36 dst_sel:DWORD dst_unused:UNUSED_PAD src0_sel:BYTE_3 src1_sel:DWORD
                                        ; implicit-def: $vgpr31
	s_and_saveexec_b64 s[16:17], vcc
	s_xor_b64 s[72:73], exec, s[16:17]
	s_cbranch_execz .LBB4_1037
; %bb.1028:                             ;   in Loop: Header=BB4_738 Depth=2
	v_mov_b32_e32 v31, 0
	v_cmp_ne_u32_e32 vcc, 0, v4
	s_and_saveexec_b64 s[74:75], vcc
	s_cbranch_execz .LBB4_1036
; %bb.1029:                             ;   in Loop: Header=BB4_738 Depth=2
	v_and_b32_e32 v17, 0x7fffff, v4
	v_bfe_u32 v4, v4, 23, 8
	v_cmp_gt_u32_e64 s[16:17], s38, v4
	v_sub_u32_e32 v18, 0x79, v4
	v_cmp_eq_u32_e32 vcc, 0, v4
	v_cndmask_b32_e64 v18, 0, v18, s[16:17]
	v_or_b32_e32 v23, 0x800000, v17
	v_cndmask_b32_e32 v31, v18, v8, vcc
	v_cndmask_b32_e32 v40, v23, v17, vcc
	v_add_u32_e32 v17, 20, v31
	v_lshlrev_b64 v[17:18], v17, -1
	v_add_u32_e32 v23, 19, v31
	v_lshlrev_b64 v[23:24], v23, 1
	v_bfi_b32 v18, v18, 0, 0
	v_bfi_b32 v17, v17, 0, v40
	v_cmp_eq_u64_e64 s[16:17], v[17:18], v[23:24]
	v_lshrrev_b64 v[17:18], v31, v[40:41]
	v_mov_b32_e32 v28, v18
	v_mov_b32_e32 v27, v17
	s_and_saveexec_b64 s[76:77], s[16:17]
; %bb.1030:                             ;   in Loop: Header=BB4_738 Depth=2
	v_bfe_u32 v18, v17, 20, 1
	v_add_co_u32_e64 v18, s[16:17], v17, v18
	v_add_co_u32_e64 v27, s[16:17], -1, v18
; %bb.1031:                             ;   in Loop: Header=BB4_738 Depth=2
	s_or_b64 exec, exec, s[76:77]
	v_add_u32_e32 v4, 0xffffff81, v4
	v_cndmask_b32_e32 v4, v4, v54, vcc
	v_lshrrev_b32_e32 v18, 23, v17
	v_add3_u32 v24, v31, v4, v18
	v_add_u32_e32 v23, 6, v24
	v_and_b32_e32 v4, 0xfffff, v27
	v_add_u32_e32 v40, v4, v17
	v_cmp_ne_u32_e32 vcc, 0, v23
                                        ; implicit-def: $vgpr17_vgpr18
                                        ; implicit-def: $vgpr4
	s_and_saveexec_b64 s[16:17], vcc
	s_xor_b64 s[16:17], exec, s[16:17]
; %bb.1032:                             ;   in Loop: Header=BB4_738 Depth=2
	v_cmp_lt_u64_e32 vcc, s[58:59], v[40:41]
	v_add_u32_e32 v4, 7, v24
	v_cndmask_b32_e64 v17, 0, 1, vcc
	v_cndmask_b32_e32 v4, v23, v4, vcc
	v_lshrrev_b64 v[17:18], v17, v[40:41]
; %bb.1033:                             ;   in Loop: Header=BB4_738 Depth=2
	s_andn2_saveexec_b64 s[16:17], s[16:17]
; %bb.1034:                             ;   in Loop: Header=BB4_738 Depth=2
	v_mov_b32_e32 v17, v40
	v_bfe_u32 v4, v40, 23, 1
	v_mov_b32_e32 v18, v41
; %bb.1035:                             ;   in Loop: Header=BB4_738 Depth=2
	s_or_b64 exec, exec, s[16:17]
	v_lshrrev_b64 v[17:18], 20, v[17:18]
	v_cmp_gt_i32_e32 vcc, 16, v4
	v_cndmask_b32_e32 v18, 0, v18, vcc
	v_cndmask_b32_e32 v17, 7, v17, vcc
	v_cmp_eq_u32_e32 vcc, 0, v4
	v_min_i32_e32 v4, 15, v4
	v_cmp_eq_u64_e64 s[16:17], 0, v[17:18]
	v_lshlrev_b32_e32 v4, 3, v4
	v_and_b32_e32 v4, 0xf8, v4
	v_and_or_b32 v4, v17, 7, v4
	s_and_b64 s[16:17], vcc, s[16:17]
	v_cndmask_b32_e64 v4, v4, 0, s[16:17]
	v_or_b32_e32 v31, v4, v0
.LBB4_1036:                             ;   in Loop: Header=BB4_738 Depth=2
	s_or_b64 exec, exec, s[74:75]
                                        ; implicit-def: $vgpr0
.LBB4_1037:                             ;   in Loop: Header=BB4_738 Depth=2
	s_andn2_saveexec_b64 s[16:17], s[72:73]
; %bb.1038:                             ;   in Loop: Header=BB4_738 Depth=2
	v_or_b32_e32 v31, 0x7e, v0
; %bb.1039:                             ;   in Loop: Header=BB4_738 Depth=2
	s_or_b64 exec, exec, s[16:17]
                                        ; implicit-def: $vgpr4
.LBB4_1040:                             ;   in Loop: Header=BB4_738 Depth=2
	s_andn2_saveexec_b64 s[16:17], s[62:63]
; %bb.1041:                             ;   in Loop: Header=BB4_738 Depth=2
	v_or_b32_sdwa v31, v4, s37 dst_sel:DWORD dst_unused:UNUSED_PAD src0_sel:BYTE_3 src1_sel:DWORD
; %bb.1042:                             ;   in Loop: Header=BB4_738 Depth=2
	s_or_b64 exec, exec, s[16:17]
	v_cmp_ne_u16_sdwa s[62:63], v19, v41 src0_sel:BYTE_0 src1_sel:DWORD
	v_mov_b32_e32 v0, 0
	v_mov_b32_e32 v4, 0
	s_and_saveexec_b64 s[16:17], s[62:63]
	s_cbranch_execz .LBB4_1048
; %bb.1043:                             ;   in Loop: Header=BB4_738 Depth=2
	v_cmp_ne_u16_sdwa s[72:73], v19, s36 src0_sel:BYTE_0 src1_sel:DWORD
	v_bfrev_b32_e32 v4, 1
	s_and_saveexec_b64 s[62:63], s[72:73]
	s_cbranch_execz .LBB4_1047
; %bb.1044:                             ;   in Loop: Header=BB4_738 Depth=2
	v_and_b32_e32 v17, 0x7f, v19
	v_cmp_ne_u32_e32 vcc, s37, v17
	v_mov_b32_e32 v4, 0x7f800001
	s_and_saveexec_b64 s[72:73], vcc
	s_cbranch_execz .LBB4_1046
; %bb.1045:                             ;   in Loop: Header=BB4_738 Depth=2
	v_and_b32_e32 v4, 7, v19
	v_ffbh_u32_e32 v4, v4
	v_min_u32_e32 v4, 32, v4
	v_lshrrev_b32_e32 v18, 3, v17
	v_cmp_gt_u32_e32 vcc, 8, v17
	v_subrev_u32_e32 v17, 28, v4
	v_sub_u32_e32 v4, 29, v4
	v_cndmask_b32_e32 v17, 0, v17, vcc
	v_cndmask_b32_e32 v4, v18, v4, vcc
	v_lshlrev_b64 v[17:18], v17, v[19:20]
	v_lshlrev_b32_e32 v18, 24, v19
	v_lshlrev_b32_e32 v17, 20, v17
	v_and_b32_e32 v17, 0x700000, v17
	v_and_b32_e32 v18, 0x80000000, v18
	v_lshl_add_u32 v4, v4, 23, v7
	v_or3_b32 v4, v18, v4, v17
.LBB4_1046:                             ;   in Loop: Header=BB4_738 Depth=2
	s_or_b64 exec, exec, s[72:73]
.LBB4_1047:                             ;   in Loop: Header=BB4_738 Depth=2
	s_or_b64 exec, exec, s[62:63]
.LBB4_1048:                             ;   in Loop: Header=BB4_738 Depth=2
	s_or_b64 exec, exec, s[16:17]
	v_lshlrev_b32_e32 v17, 24, v32
	v_lshlrev_b32_e32 v18, 16, v30
	v_lshl_or_b32 v20, v26, 8, v10
	v_or3_b32 v40, v18, v17, v20
	v_cmp_ne_u32_e32 vcc, 0, v10
	s_and_saveexec_b64 s[16:17], vcc
	s_cbranch_execz .LBB4_1054
; %bb.1049:                             ;   in Loop: Header=BB4_738 Depth=2
	v_cmp_ne_u32_e32 vcc, s36, v10
	v_bfrev_b32_e32 v0, 1
	s_and_saveexec_b64 s[62:63], vcc
	s_cbranch_execz .LBB4_1053
; %bb.1050:                             ;   in Loop: Header=BB4_738 Depth=2
	v_and_b32_e32 v17, 0x7f, v10
	v_cmp_ne_u32_e32 vcc, s37, v17
	v_mov_b32_e32 v0, 0x7f800001
	s_and_saveexec_b64 s[72:73], vcc
	s_cbranch_execz .LBB4_1052
; %bb.1051:                             ;   in Loop: Header=BB4_738 Depth=2
	v_and_b32_e32 v0, 7, v10
	v_ffbh_u32_e32 v0, v0
	v_min_u32_e32 v0, 32, v0
	v_lshrrev_b32_e32 v10, 3, v17
	v_cmp_gt_u32_e32 vcc, 8, v17
	v_subrev_u32_e32 v17, 28, v0
	v_sub_u32_e32 v0, 29, v0
	v_cndmask_b32_e32 v0, v10, v0, vcc
	v_cndmask_b32_e32 v10, 0, v17, vcc
	v_lshlrev_b64 v[17:18], v10, v[40:41]
	v_lshl_add_u32 v0, v0, 23, v7
	v_lshlrev_b32_e32 v10, 20, v17
	v_lshlrev_b32_e32 v17, 24, v40
	v_and_b32_e32 v10, 0x700000, v10
	v_and_b32_e32 v17, 0x80000000, v17
	v_or3_b32 v0, v17, v0, v10
.LBB4_1052:                             ;   in Loop: Header=BB4_738 Depth=2
	s_or_b64 exec, exec, s[72:73]
.LBB4_1053:                             ;   in Loop: Header=BB4_738 Depth=2
	s_or_b64 exec, exec, s[62:63]
.LBB4_1054:                             ;   in Loop: Header=BB4_738 Depth=2
	s_or_b64 exec, exec, s[16:17]
	v_add_f32_e32 v10, v4, v0
	v_and_b32_e32 v17, 0x7f800000, v10
	v_mov_b32_e32 v18, v41
	v_cmp_ne_u64_e32 vcc, s[46:47], v[17:18]
                                        ; implicit-def: $vgpr4
	s_and_saveexec_b64 s[16:17], vcc
	s_xor_b64 s[62:63], exec, s[16:17]
	s_cbranch_execz .LBB4_1068
; %bb.1055:                             ;   in Loop: Header=BB4_738 Depth=2
	v_and_b32_e32 v17, 0x7fffffff, v10
	v_mov_b32_e32 v18, v41
	v_cmp_gt_u64_e32 vcc, s[56:57], v[17:18]
	v_and_b32_sdwa v0, v10, s36 dst_sel:DWORD dst_unused:UNUSED_PAD src0_sel:BYTE_3 src1_sel:DWORD
                                        ; implicit-def: $vgpr4
	s_and_saveexec_b64 s[16:17], vcc
	s_xor_b64 s[72:73], exec, s[16:17]
	s_cbranch_execz .LBB4_1065
; %bb.1056:                             ;   in Loop: Header=BB4_738 Depth=2
	v_mov_b32_e32 v4, 0
	v_cmp_ne_u32_e32 vcc, 0, v10
	s_and_saveexec_b64 s[74:75], vcc
	s_cbranch_execz .LBB4_1064
; %bb.1057:                             ;   in Loop: Header=BB4_738 Depth=2
	v_bfe_u32 v4, v10, 23, 8
	v_and_b32_e32 v17, 0x7fffff, v10
	v_cmp_gt_u32_e64 s[16:17], s38, v4
	v_sub_u32_e32 v10, 0x79, v4
	v_cmp_eq_u32_e32 vcc, 0, v4
	v_cndmask_b32_e64 v10, 0, v10, s[16:17]
	v_cndmask_b32_e32 v10, v10, v8, vcc
	v_add_u32_e32 v23, 20, v10
	v_or_b32_e32 v18, 0x800000, v17
	v_lshlrev_b64 v[23:24], v23, -1
	v_cndmask_b32_e32 v17, v18, v17, vcc
	v_mov_b32_e32 v18, v41
	v_add_u32_e32 v26, 19, v10
	v_bfi_b32 v23, v23, 0, v17
	v_lshlrev_b64 v[26:27], v26, 1
	v_lshrrev_b64 v[17:18], v10, v[17:18]
	v_bfi_b32 v24, v24, 0, 0
	v_cmp_eq_u64_e64 s[16:17], v[23:24], v[26:27]
	v_mov_b32_e32 v28, v18
	v_mov_b32_e32 v27, v17
	s_and_saveexec_b64 s[76:77], s[16:17]
; %bb.1058:                             ;   in Loop: Header=BB4_738 Depth=2
	v_bfe_u32 v18, v17, 20, 1
	v_add_co_u32_e64 v18, s[16:17], v17, v18
	v_add_co_u32_e64 v27, s[16:17], -1, v18
; %bb.1059:                             ;   in Loop: Header=BB4_738 Depth=2
	s_or_b64 exec, exec, s[76:77]
	v_add_u32_e32 v4, 0xffffff81, v4
	v_cndmask_b32_e32 v4, v4, v54, vcc
	v_lshrrev_b32_e32 v18, 23, v17
	v_add3_u32 v23, v10, v4, v18
	v_add_u32_e32 v10, 6, v23
	v_and_b32_e32 v4, 0xfffff, v27
	v_add_u32_e32 v17, v4, v17
	v_mov_b32_e32 v18, v41
	v_cmp_ne_u32_e32 vcc, 0, v10
                                        ; implicit-def: $vgpr4
	s_and_saveexec_b64 s[16:17], vcc
	s_xor_b64 s[16:17], exec, s[16:17]
; %bb.1060:                             ;   in Loop: Header=BB4_738 Depth=2
	v_cmp_lt_u64_e32 vcc, s[58:59], v[17:18]
	v_add_u32_e32 v4, 7, v23
	v_cndmask_b32_e32 v4, v10, v4, vcc
	v_cndmask_b32_e64 v10, 0, 1, vcc
	v_lshrrev_b64 v[17:18], v10, v[17:18]
; %bb.1061:                             ;   in Loop: Header=BB4_738 Depth=2
	s_andn2_saveexec_b64 s[16:17], s[16:17]
; %bb.1062:                             ;   in Loop: Header=BB4_738 Depth=2
	v_bfe_u32 v4, v17, 23, 1
; %bb.1063:                             ;   in Loop: Header=BB4_738 Depth=2
	s_or_b64 exec, exec, s[16:17]
	v_lshrrev_b64 v[17:18], 20, v[17:18]
	v_cmp_gt_i32_e32 vcc, 16, v4
	v_cndmask_b32_e32 v18, 0, v18, vcc
	v_cndmask_b32_e32 v17, 7, v17, vcc
	v_cmp_eq_u32_e32 vcc, 0, v4
	v_min_i32_e32 v4, 15, v4
	v_cmp_eq_u64_e64 s[16:17], 0, v[17:18]
	v_lshlrev_b32_e32 v4, 3, v4
	v_and_b32_e32 v4, 0xf8, v4
	v_and_or_b32 v4, v17, 7, v4
	s_and_b64 s[16:17], vcc, s[16:17]
	v_cndmask_b32_e64 v4, v4, 0, s[16:17]
	v_or_b32_e32 v4, v4, v0
.LBB4_1064:                             ;   in Loop: Header=BB4_738 Depth=2
	s_or_b64 exec, exec, s[74:75]
                                        ; implicit-def: $vgpr0
.LBB4_1065:                             ;   in Loop: Header=BB4_738 Depth=2
	s_andn2_saveexec_b64 s[16:17], s[72:73]
; %bb.1066:                             ;   in Loop: Header=BB4_738 Depth=2
	v_or_b32_e32 v4, 0x7e, v0
; %bb.1067:                             ;   in Loop: Header=BB4_738 Depth=2
	s_or_b64 exec, exec, s[16:17]
                                        ; implicit-def: $vgpr10
.LBB4_1068:                             ;   in Loop: Header=BB4_738 Depth=2
	s_andn2_saveexec_b64 s[16:17], s[62:63]
; %bb.1069:                             ;   in Loop: Header=BB4_738 Depth=2
	v_or_b32_sdwa v4, v10, s37 dst_sel:DWORD dst_unused:UNUSED_PAD src0_sel:BYTE_3 src1_sel:DWORD
; %bb.1070:                             ;   in Loop: Header=BB4_738 Depth=2
	s_or_b64 exec, exec, s[16:17]
	v_lshrrev_b16_e32 v0, 8, v19
	v_cmp_ne_u16_e32 vcc, 0, v0
	v_mov_b32_e32 v10, 0
	v_mov_b32_e32 v17, 0
	s_and_saveexec_b64 s[16:17], vcc
	s_cbranch_execz .LBB4_1076
; %bb.1071:                             ;   in Loop: Header=BB4_738 Depth=2
	v_cmp_ne_u16_e32 vcc, s36, v0
	v_bfrev_b32_e32 v17, 1
	s_and_saveexec_b64 s[62:63], vcc
	s_cbranch_execz .LBB4_1075
; %bb.1072:                             ;   in Loop: Header=BB4_738 Depth=2
	v_and_b32_e32 v18, 0x7f, v0
	v_cmp_ne_u32_e32 vcc, s37, v18
	v_mov_b32_e32 v17, 0x7f800001
	s_and_saveexec_b64 s[72:73], vcc
	s_cbranch_execz .LBB4_1074
; %bb.1073:                             ;   in Loop: Header=BB4_738 Depth=2
	v_and_b32_e32 v23, 7, v0
	v_ffbh_u32_e32 v17, v23
	v_min_u32_e32 v26, 32, v17
	v_subrev_u32_e32 v17, 28, v26
	v_lshrrev_b32_e32 v24, 3, v18
	v_cmp_gt_u32_e32 vcc, 8, v18
	v_lshlrev_b64 v[17:18], v17, v[0:1]
	v_sub_u32_e32 v0, 29, v26
	v_and_b32_e32 v17, 7, v17
	v_cndmask_b32_e32 v0, v24, v0, vcc
	v_cndmask_b32_e32 v17, v23, v17, vcc
	v_lshlrev_b32_e32 v18, 16, v19
	v_lshlrev_b32_e32 v17, 20, v17
	v_and_b32_e32 v18, 0x80000000, v18
	v_lshl_add_u32 v0, v0, 23, v7
	v_or3_b32 v17, v18, v0, v17
.LBB4_1074:                             ;   in Loop: Header=BB4_738 Depth=2
	s_or_b64 exec, exec, s[72:73]
.LBB4_1075:                             ;   in Loop: Header=BB4_738 Depth=2
	s_or_b64 exec, exec, s[62:63]
.LBB4_1076:                             ;   in Loop: Header=BB4_738 Depth=2
	s_or_b64 exec, exec, s[16:17]
	v_lshrrev_b16_e32 v0, 8, v20
	v_cmp_ne_u16_e32 vcc, 0, v0
	s_and_saveexec_b64 s[16:17], vcc
	s_cbranch_execz .LBB4_1082
; %bb.1077:                             ;   in Loop: Header=BB4_738 Depth=2
	v_cmp_ne_u16_e32 vcc, s36, v0
	v_bfrev_b32_e32 v10, 1
	s_and_saveexec_b64 s[62:63], vcc
	s_cbranch_execz .LBB4_1081
; %bb.1078:                             ;   in Loop: Header=BB4_738 Depth=2
	v_and_b32_e32 v18, 0x7f, v0
	v_cmp_ne_u32_e32 vcc, s37, v18
	v_mov_b32_e32 v10, 0x7f800001
	s_and_saveexec_b64 s[72:73], vcc
	s_cbranch_execz .LBB4_1080
; %bb.1079:                             ;   in Loop: Header=BB4_738 Depth=2
	v_and_b32_e32 v10, 7, v0
	v_lshrrev_b32_e32 v26, 3, v18
	v_cmp_gt_u32_e32 vcc, 8, v18
	v_ffbh_u32_e32 v18, v10
	v_min_u32_e32 v18, 32, v18
	v_subrev_u32_e32 v23, 28, v18
	v_lshlrev_b64 v[23:24], v23, v[0:1]
	v_sub_u32_e32 v0, 29, v18
	v_and_b32_e32 v18, 7, v23
	v_cndmask_b32_e32 v0, v26, v0, vcc
	v_cndmask_b32_e32 v10, v10, v18, vcc
	v_lshlrev_b32_e32 v18, 16, v20
	v_lshlrev_b32_e32 v10, 20, v10
	v_and_b32_e32 v18, 0x80000000, v18
	v_lshl_add_u32 v0, v0, 23, v7
	v_or3_b32 v10, v18, v0, v10
.LBB4_1080:                             ;   in Loop: Header=BB4_738 Depth=2
	s_or_b64 exec, exec, s[72:73]
.LBB4_1081:                             ;   in Loop: Header=BB4_738 Depth=2
	s_or_b64 exec, exec, s[62:63]
.LBB4_1082:                             ;   in Loop: Header=BB4_738 Depth=2
	s_or_b64 exec, exec, s[16:17]
	v_add_f32_e32 v17, v17, v10
	v_and_b32_e32 v23, 0x7f800000, v17
	v_mov_b32_e32 v24, v41
	v_cmp_ne_u64_e32 vcc, s[46:47], v[23:24]
                                        ; implicit-def: $vgpr10
	s_and_saveexec_b64 s[16:17], vcc
	s_xor_b64 s[62:63], exec, s[16:17]
	s_cbranch_execz .LBB4_1096
; %bb.1083:                             ;   in Loop: Header=BB4_738 Depth=2
	v_and_b32_e32 v23, 0x7fffffff, v17
	v_mov_b32_e32 v24, v41
	v_cmp_gt_u64_e32 vcc, s[56:57], v[23:24]
	v_and_b32_sdwa v0, v17, s36 dst_sel:DWORD dst_unused:UNUSED_PAD src0_sel:BYTE_3 src1_sel:DWORD
                                        ; implicit-def: $vgpr10
	s_and_saveexec_b64 s[16:17], vcc
	s_xor_b64 s[72:73], exec, s[16:17]
	s_cbranch_execz .LBB4_1093
; %bb.1084:                             ;   in Loop: Header=BB4_738 Depth=2
	v_mov_b32_e32 v10, 0
	v_cmp_ne_u32_e32 vcc, 0, v17
	s_and_saveexec_b64 s[74:75], vcc
	s_cbranch_execz .LBB4_1092
; %bb.1085:                             ;   in Loop: Header=BB4_738 Depth=2
	v_bfe_u32 v10, v17, 23, 8
	v_and_b32_e32 v18, 0x7fffff, v17
	v_cmp_gt_u32_e64 s[16:17], s38, v10
	v_sub_u32_e32 v17, 0x79, v10
	v_cmp_eq_u32_e32 vcc, 0, v10
	v_cndmask_b32_e64 v17, 0, v17, s[16:17]
	v_or_b32_e32 v23, 0x800000, v18
	v_cndmask_b32_e32 v20, v17, v8, vcc
	v_cndmask_b32_e32 v17, v23, v18, vcc
	v_add_u32_e32 v23, 20, v20
	v_lshlrev_b64 v[23:24], v23, -1
	v_mov_b32_e32 v18, v41
	v_add_u32_e32 v26, 19, v20
	v_bfi_b32 v23, v23, 0, v17
	v_lshlrev_b64 v[26:27], v26, 1
	v_lshrrev_b64 v[17:18], v20, v[17:18]
	v_bfi_b32 v24, v24, 0, 0
	v_cmp_eq_u64_e64 s[16:17], v[23:24], v[26:27]
	v_mov_b32_e32 v28, v18
	v_mov_b32_e32 v27, v17
	s_and_saveexec_b64 s[76:77], s[16:17]
; %bb.1086:                             ;   in Loop: Header=BB4_738 Depth=2
	v_bfe_u32 v18, v17, 20, 1
	v_add_co_u32_e64 v18, s[16:17], v17, v18
	v_add_co_u32_e64 v27, s[16:17], -1, v18
; %bb.1087:                             ;   in Loop: Header=BB4_738 Depth=2
	s_or_b64 exec, exec, s[76:77]
	v_add_u32_e32 v10, 0xffffff81, v10
	v_cndmask_b32_e32 v10, v10, v54, vcc
	v_lshrrev_b32_e32 v18, 23, v17
	v_add3_u32 v23, v20, v10, v18
	v_add_u32_e32 v20, 6, v23
	v_and_b32_e32 v10, 0xfffff, v27
	v_add_u32_e32 v17, v10, v17
	v_mov_b32_e32 v18, v41
	v_cmp_ne_u32_e32 vcc, 0, v20
                                        ; implicit-def: $vgpr10
	s_and_saveexec_b64 s[16:17], vcc
	s_xor_b64 s[16:17], exec, s[16:17]
; %bb.1088:                             ;   in Loop: Header=BB4_738 Depth=2
	v_cmp_lt_u64_e32 vcc, s[58:59], v[17:18]
	v_add_u32_e32 v10, 7, v23
	v_cndmask_b32_e32 v10, v20, v10, vcc
	v_cndmask_b32_e64 v20, 0, 1, vcc
	v_lshrrev_b64 v[17:18], v20, v[17:18]
; %bb.1089:                             ;   in Loop: Header=BB4_738 Depth=2
	s_andn2_saveexec_b64 s[16:17], s[16:17]
; %bb.1090:                             ;   in Loop: Header=BB4_738 Depth=2
	v_bfe_u32 v10, v17, 23, 1
; %bb.1091:                             ;   in Loop: Header=BB4_738 Depth=2
	s_or_b64 exec, exec, s[16:17]
	v_lshrrev_b64 v[17:18], 20, v[17:18]
	v_cmp_gt_i32_e32 vcc, 16, v10
	v_cndmask_b32_e32 v18, 0, v18, vcc
	v_cndmask_b32_e32 v17, 7, v17, vcc
	v_cmp_eq_u32_e32 vcc, 0, v10
	v_min_i32_e32 v10, 15, v10
	v_cmp_eq_u64_e64 s[16:17], 0, v[17:18]
	v_lshlrev_b32_e32 v10, 3, v10
	v_and_b32_e32 v10, 0xf8, v10
	v_and_or_b32 v10, v17, 7, v10
	s_and_b64 s[16:17], vcc, s[16:17]
	v_cndmask_b32_e64 v10, v10, 0, s[16:17]
	v_or_b32_e32 v10, v10, v0
.LBB4_1092:                             ;   in Loop: Header=BB4_738 Depth=2
	s_or_b64 exec, exec, s[74:75]
                                        ; implicit-def: $vgpr0
.LBB4_1093:                             ;   in Loop: Header=BB4_738 Depth=2
	s_andn2_saveexec_b64 s[16:17], s[72:73]
; %bb.1094:                             ;   in Loop: Header=BB4_738 Depth=2
	v_or_b32_e32 v10, 0x7e, v0
; %bb.1095:                             ;   in Loop: Header=BB4_738 Depth=2
	s_or_b64 exec, exec, s[16:17]
                                        ; implicit-def: $vgpr17
.LBB4_1096:                             ;   in Loop: Header=BB4_738 Depth=2
	s_andn2_saveexec_b64 s[16:17], s[62:63]
; %bb.1097:                             ;   in Loop: Header=BB4_738 Depth=2
	v_or_b32_sdwa v10, v17, s37 dst_sel:DWORD dst_unused:UNUSED_PAD src0_sel:BYTE_3 src1_sel:DWORD
; %bb.1098:                             ;   in Loop: Header=BB4_738 Depth=2
	s_or_b64 exec, exec, s[16:17]
	v_lshrrev_b32_e32 v0, 16, v19
	v_cmp_ne_u16_sdwa s[62:63], v0, v41 src0_sel:BYTE_0 src1_sel:DWORD
	v_mov_b32_e32 v17, 0
	v_mov_b32_e32 v18, 0
	s_and_saveexec_b64 s[16:17], s[62:63]
	s_cbranch_execz .LBB4_1104
; %bb.1099:                             ;   in Loop: Header=BB4_738 Depth=2
	v_cmp_ne_u16_sdwa s[72:73], v0, s36 src0_sel:BYTE_0 src1_sel:DWORD
	v_bfrev_b32_e32 v18, 1
	s_and_saveexec_b64 s[62:63], s[72:73]
	s_cbranch_execz .LBB4_1103
; %bb.1100:                             ;   in Loop: Header=BB4_738 Depth=2
	v_bfe_u32 v20, v19, 16, 7
	v_cmp_ne_u32_e32 vcc, s37, v20
	v_mov_b32_e32 v18, 0x7f800001
	s_and_saveexec_b64 s[72:73], vcc
	s_cbranch_execz .LBB4_1102
; %bb.1101:                             ;   in Loop: Header=BB4_738 Depth=2
	v_and_b32_e32 v18, 7, v0
	v_lshrrev_b32_e32 v26, 3, v20
	v_cmp_gt_u32_e32 vcc, 8, v20
	v_ffbh_u32_e32 v20, v18
	v_min_u32_e32 v20, 32, v20
	v_subrev_u32_e32 v23, 28, v20
	v_lshlrev_b64 v[23:24], v23, v[0:1]
	v_sub_u32_e32 v20, 29, v20
	v_and_b32_e32 v23, 7, v23
	v_cndmask_b32_e32 v20, v26, v20, vcc
	v_cndmask_b32_e32 v18, v18, v23, vcc
	v_lshlrev_b32_e32 v0, 24, v0
	v_lshlrev_b32_e32 v18, 20, v18
	v_and_b32_e32 v0, 0x80000000, v0
	v_lshl_add_u32 v20, v20, 23, v7
	v_or3_b32 v18, v0, v20, v18
.LBB4_1102:                             ;   in Loop: Header=BB4_738 Depth=2
	s_or_b64 exec, exec, s[72:73]
.LBB4_1103:                             ;   in Loop: Header=BB4_738 Depth=2
	s_or_b64 exec, exec, s[62:63]
.LBB4_1104:                             ;   in Loop: Header=BB4_738 Depth=2
	s_or_b64 exec, exec, s[16:17]
	v_lshrrev_b32_e32 v0, 16, v40
	v_cmp_ne_u16_sdwa s[62:63], v0, v41 src0_sel:BYTE_0 src1_sel:DWORD
	s_and_saveexec_b64 s[16:17], s[62:63]
	s_cbranch_execz .LBB4_1110
; %bb.1105:                             ;   in Loop: Header=BB4_738 Depth=2
	v_cmp_ne_u16_sdwa s[72:73], v0, s36 src0_sel:BYTE_0 src1_sel:DWORD
	v_bfrev_b32_e32 v17, 1
	s_and_saveexec_b64 s[62:63], s[72:73]
	s_cbranch_execz .LBB4_1109
; %bb.1106:                             ;   in Loop: Header=BB4_738 Depth=2
	v_bfe_u32 v20, v40, 16, 7
	v_cmp_ne_u32_e32 vcc, s37, v20
	v_mov_b32_e32 v17, 0x7f800001
	s_and_saveexec_b64 s[72:73], vcc
	s_cbranch_execz .LBB4_1108
; %bb.1107:                             ;   in Loop: Header=BB4_738 Depth=2
	v_and_b32_e32 v17, 7, v0
	v_lshrrev_b32_e32 v26, 3, v20
	v_cmp_gt_u32_e32 vcc, 8, v20
	v_ffbh_u32_e32 v20, v17
	v_min_u32_e32 v20, 32, v20
	v_subrev_u32_e32 v23, 28, v20
	v_lshlrev_b64 v[23:24], v23, v[0:1]
	v_sub_u32_e32 v0, 29, v20
	v_and_b32_e32 v20, 7, v23
	v_cndmask_b32_e32 v0, v26, v0, vcc
	v_cndmask_b32_e32 v17, v17, v20, vcc
	v_lshlrev_b32_e32 v20, 8, v40
	v_lshlrev_b32_e32 v17, 20, v17
	v_and_b32_e32 v20, 0x80000000, v20
	v_lshl_add_u32 v0, v0, 23, v7
	v_or3_b32 v17, v20, v0, v17
.LBB4_1108:                             ;   in Loop: Header=BB4_738 Depth=2
	s_or_b64 exec, exec, s[72:73]
.LBB4_1109:                             ;   in Loop: Header=BB4_738 Depth=2
	s_or_b64 exec, exec, s[62:63]
.LBB4_1110:                             ;   in Loop: Header=BB4_738 Depth=2
	s_or_b64 exec, exec, s[16:17]
	v_add_f32_e32 v17, v18, v17
	v_and_b32_e32 v23, 0x7f800000, v17
	v_mov_b32_e32 v24, v41
	v_cmp_ne_u64_e32 vcc, s[46:47], v[23:24]
                                        ; implicit-def: $vgpr20
	s_and_saveexec_b64 s[16:17], vcc
	s_xor_b64 s[62:63], exec, s[16:17]
	s_cbranch_execz .LBB4_1124
; %bb.1111:                             ;   in Loop: Header=BB4_738 Depth=2
	v_and_b32_e32 v23, 0x7fffffff, v17
	v_mov_b32_e32 v24, v41
	v_cmp_gt_u64_e32 vcc, s[56:57], v[23:24]
	v_and_b32_sdwa v0, v17, s36 dst_sel:DWORD dst_unused:UNUSED_PAD src0_sel:BYTE_3 src1_sel:DWORD
                                        ; implicit-def: $vgpr20
	s_and_saveexec_b64 s[16:17], vcc
	s_xor_b64 s[72:73], exec, s[16:17]
	s_cbranch_execz .LBB4_1121
; %bb.1112:                             ;   in Loop: Header=BB4_738 Depth=2
	v_mov_b32_e32 v20, 0
	v_cmp_ne_u32_e32 vcc, 0, v17
	s_and_saveexec_b64 s[74:75], vcc
	s_cbranch_execz .LBB4_1120
; %bb.1113:                             ;   in Loop: Header=BB4_738 Depth=2
	v_bfe_u32 v20, v17, 23, 8
	v_and_b32_e32 v18, 0x7fffff, v17
	v_cmp_gt_u32_e64 s[16:17], s38, v20
	v_sub_u32_e32 v17, 0x79, v20
	v_cmp_eq_u32_e32 vcc, 0, v20
	v_cndmask_b32_e64 v17, 0, v17, s[16:17]
	v_or_b32_e32 v23, 0x800000, v18
	v_cndmask_b32_e32 v26, v17, v8, vcc
	v_cndmask_b32_e32 v17, v23, v18, vcc
	v_add_u32_e32 v23, 20, v26
	v_lshlrev_b64 v[23:24], v23, -1
	v_mov_b32_e32 v18, v41
	v_add_u32_e32 v27, 19, v26
	v_bfi_b32 v23, v23, 0, v17
	v_lshlrev_b64 v[27:28], v27, 1
	v_lshrrev_b64 v[17:18], v26, v[17:18]
	v_bfi_b32 v24, v24, 0, 0
	v_cmp_eq_u64_e64 s[16:17], v[23:24], v[27:28]
	v_mov_b32_e32 v28, v18
	v_mov_b32_e32 v27, v17
	s_and_saveexec_b64 s[76:77], s[16:17]
; %bb.1114:                             ;   in Loop: Header=BB4_738 Depth=2
	v_bfe_u32 v18, v17, 20, 1
	v_add_co_u32_e64 v18, s[16:17], v17, v18
	v_add_co_u32_e64 v27, s[16:17], -1, v18
; %bb.1115:                             ;   in Loop: Header=BB4_738 Depth=2
	s_or_b64 exec, exec, s[76:77]
	v_add_u32_e32 v18, 0xffffff81, v20
	v_cndmask_b32_e32 v18, v18, v54, vcc
	v_lshrrev_b32_e32 v20, 23, v17
	v_add3_u32 v24, v26, v18, v20
	v_add_u32_e32 v23, 6, v24
	v_and_b32_e32 v18, 0xfffff, v27
	v_add_u32_e32 v17, v18, v17
	v_mov_b32_e32 v18, v41
	v_cmp_ne_u32_e32 vcc, 0, v23
                                        ; implicit-def: $vgpr20
	s_and_saveexec_b64 s[16:17], vcc
	s_xor_b64 s[16:17], exec, s[16:17]
; %bb.1116:                             ;   in Loop: Header=BB4_738 Depth=2
	v_cmp_lt_u64_e32 vcc, s[58:59], v[17:18]
	v_add_u32_e32 v20, 7, v24
	v_cndmask_b32_e32 v20, v23, v20, vcc
	v_cndmask_b32_e64 v23, 0, 1, vcc
	v_lshrrev_b64 v[17:18], v23, v[17:18]
; %bb.1117:                             ;   in Loop: Header=BB4_738 Depth=2
	s_andn2_saveexec_b64 s[16:17], s[16:17]
; %bb.1118:                             ;   in Loop: Header=BB4_738 Depth=2
	v_bfe_u32 v20, v17, 23, 1
; %bb.1119:                             ;   in Loop: Header=BB4_738 Depth=2
	s_or_b64 exec, exec, s[16:17]
	v_lshrrev_b64 v[17:18], 20, v[17:18]
	v_cmp_gt_i32_e32 vcc, 16, v20
	v_cndmask_b32_e32 v18, 0, v18, vcc
	v_cndmask_b32_e32 v17, 7, v17, vcc
	v_cmp_eq_u64_e64 s[16:17], 0, v[17:18]
	v_min_i32_e32 v18, 15, v20
	v_lshlrev_b32_e32 v18, 3, v18
	v_cmp_eq_u32_e32 vcc, 0, v20
	v_and_b32_e32 v18, 0xf8, v18
	v_and_or_b32 v17, v17, 7, v18
	s_and_b64 s[16:17], vcc, s[16:17]
	v_cndmask_b32_e64 v17, v17, 0, s[16:17]
	v_or_b32_e32 v20, v17, v0
.LBB4_1120:                             ;   in Loop: Header=BB4_738 Depth=2
	s_or_b64 exec, exec, s[74:75]
                                        ; implicit-def: $vgpr0
.LBB4_1121:                             ;   in Loop: Header=BB4_738 Depth=2
	s_andn2_saveexec_b64 s[16:17], s[72:73]
; %bb.1122:                             ;   in Loop: Header=BB4_738 Depth=2
	v_or_b32_e32 v20, 0x7e, v0
; %bb.1123:                             ;   in Loop: Header=BB4_738 Depth=2
	s_or_b64 exec, exec, s[16:17]
                                        ; implicit-def: $vgpr17
.LBB4_1124:                             ;   in Loop: Header=BB4_738 Depth=2
	s_andn2_saveexec_b64 s[16:17], s[62:63]
; %bb.1125:                             ;   in Loop: Header=BB4_738 Depth=2
	v_or_b32_sdwa v20, v17, s37 dst_sel:DWORD dst_unused:UNUSED_PAD src0_sel:BYTE_3 src1_sel:DWORD
; %bb.1126:                             ;   in Loop: Header=BB4_738 Depth=2
	s_or_b64 exec, exec, s[16:17]
	v_and_b32_e32 v17, 0xff000000, v19
	v_mov_b32_e32 v18, v41
	v_cmp_ne_u64_e32 vcc, 0, v[17:18]
	v_mov_b32_e32 v17, 0
	v_mov_b32_e32 v18, 0
	s_and_saveexec_b64 s[16:17], vcc
	s_cbranch_execz .LBB4_1132
; %bb.1127:                             ;   in Loop: Header=BB4_738 Depth=2
	v_lshrrev_b32_e32 v0, 24, v19
	v_cmp_ne_u32_e32 vcc, s36, v0
	v_bfrev_b32_e32 v18, 1
	s_and_saveexec_b64 s[62:63], vcc
	s_cbranch_execz .LBB4_1131
; %bb.1128:                             ;   in Loop: Header=BB4_738 Depth=2
	v_bfe_u32 v19, v19, 24, 7
	v_cmp_ne_u32_e32 vcc, s37, v19
	v_mov_b32_e32 v18, 0x7f800001
	s_and_saveexec_b64 s[72:73], vcc
	s_cbranch_execz .LBB4_1130
; %bb.1129:                             ;   in Loop: Header=BB4_738 Depth=2
	v_and_b32_e32 v23, 7, v0
	v_ffbh_u32_e32 v18, v23
	v_min_u32_e32 v26, 32, v18
	v_subrev_u32_e32 v18, 28, v26
	v_lshrrev_b32_e32 v24, 3, v19
	v_cmp_gt_u32_e32 vcc, 8, v19
	v_lshlrev_b64 v[18:19], v18, v[0:1]
	v_sub_u32_e32 v19, 29, v26
	v_and_b32_e32 v18, 7, v18
	v_cndmask_b32_e32 v19, v24, v19, vcc
	v_cndmask_b32_e32 v18, v23, v18, vcc
	v_lshlrev_b32_e32 v0, 24, v0
	v_lshlrev_b32_e32 v18, 20, v18
	v_and_b32_e32 v0, 0x80000000, v0
	v_lshl_add_u32 v19, v19, 23, v7
	v_or3_b32 v18, v0, v19, v18
.LBB4_1130:                             ;   in Loop: Header=BB4_738 Depth=2
	s_or_b64 exec, exec, s[72:73]
.LBB4_1131:                             ;   in Loop: Header=BB4_738 Depth=2
	s_or_b64 exec, exec, s[62:63]
.LBB4_1132:                             ;   in Loop: Header=BB4_738 Depth=2
	s_or_b64 exec, exec, s[16:17]
	v_cmp_lt_u32_e32 vcc, s39, v40
	s_and_saveexec_b64 s[16:17], vcc
	s_cbranch_execz .LBB4_1138
; %bb.1133:                             ;   in Loop: Header=BB4_738 Depth=2
	v_lshrrev_b32_e32 v0, 24, v40
	v_cmp_ne_u32_sdwa s[72:73], v40, s36 src0_sel:BYTE_3 src1_sel:DWORD
	v_bfrev_b32_e32 v17, 1
	s_and_saveexec_b64 s[62:63], s[72:73]
	s_cbranch_execz .LBB4_1137
; %bb.1134:                             ;   in Loop: Header=BB4_738 Depth=2
	v_bfe_u32 v19, v40, 24, 7
	v_cmp_ne_u32_e32 vcc, s37, v19
	v_mov_b32_e32 v17, 0x7f800001
	s_and_saveexec_b64 s[72:73], vcc
	s_cbranch_execz .LBB4_1136
; %bb.1135:                             ;   in Loop: Header=BB4_738 Depth=2
	v_and_b32_e32 v17, 7, v0
	v_lshrrev_b32_e32 v26, 3, v19
	v_cmp_gt_u32_e32 vcc, 8, v19
	v_ffbh_u32_e32 v19, v17
	v_min_u32_e32 v19, 32, v19
	v_subrev_u32_e32 v23, 28, v19
	v_lshlrev_b64 v[23:24], v23, v[0:1]
	v_sub_u32_e32 v0, 29, v19
	v_and_b32_e32 v19, 7, v23
	v_cndmask_b32_e32 v0, v26, v0, vcc
	v_cndmask_b32_e32 v17, v17, v19, vcc
	v_lshlrev_b32_sdwa v19, v55, v40 dst_sel:DWORD dst_unused:UNUSED_PAD src0_sel:DWORD src1_sel:BYTE_3
	v_lshlrev_b32_e32 v17, 20, v17
	v_and_b32_e32 v19, 0x80000000, v19
	v_lshl_add_u32 v0, v0, 23, v7
	v_or3_b32 v17, v19, v0, v17
.LBB4_1136:                             ;   in Loop: Header=BB4_738 Depth=2
	s_or_b64 exec, exec, s[72:73]
.LBB4_1137:                             ;   in Loop: Header=BB4_738 Depth=2
	s_or_b64 exec, exec, s[62:63]
.LBB4_1138:                             ;   in Loop: Header=BB4_738 Depth=2
	s_or_b64 exec, exec, s[16:17]
	v_add_f32_e32 v17, v18, v17
	v_and_b32_e32 v40, 0x7f800000, v17
	v_cmp_ne_u64_e32 vcc, s[46:47], v[40:41]
                                        ; implicit-def: $vgpr18
	s_and_saveexec_b64 s[16:17], vcc
	s_xor_b64 s[62:63], exec, s[16:17]
	s_cbranch_execz .LBB4_1152
; %bb.1139:                             ;   in Loop: Header=BB4_738 Depth=2
	v_and_b32_e32 v40, 0x7fffffff, v17
	v_cmp_gt_u64_e32 vcc, s[56:57], v[40:41]
	v_and_b32_sdwa v0, v17, s36 dst_sel:DWORD dst_unused:UNUSED_PAD src0_sel:BYTE_3 src1_sel:DWORD
                                        ; implicit-def: $vgpr18
	s_and_saveexec_b64 s[16:17], vcc
	s_xor_b64 s[72:73], exec, s[16:17]
	s_cbranch_execz .LBB4_1149
; %bb.1140:                             ;   in Loop: Header=BB4_738 Depth=2
	v_mov_b32_e32 v18, 0
	v_cmp_ne_u32_e32 vcc, 0, v17
	s_and_saveexec_b64 s[74:75], vcc
	s_cbranch_execz .LBB4_1148
; %bb.1141:                             ;   in Loop: Header=BB4_738 Depth=2
	v_bfe_u32 v26, v17, 23, 8
	v_and_b32_e32 v18, 0x7fffff, v17
	v_cmp_gt_u32_e64 s[16:17], s38, v26
	v_sub_u32_e32 v17, 0x79, v26
	v_cmp_eq_u32_e32 vcc, 0, v26
	v_cndmask_b32_e64 v17, 0, v17, s[16:17]
	v_cndmask_b32_e32 v27, v17, v8, vcc
	v_or_b32_e32 v19, 0x800000, v18
	v_add_u32_e32 v17, 20, v27
	v_cndmask_b32_e32 v40, v19, v18, vcc
	v_lshlrev_b64 v[17:18], v17, -1
	v_add_u32_e32 v19, 19, v27
	v_lshlrev_b64 v[23:24], v19, 1
	v_bfi_b32 v18, v18, 0, 0
	v_bfi_b32 v17, v17, 0, v40
	v_cmp_eq_u64_e64 s[16:17], v[17:18], v[23:24]
	v_lshrrev_b64 v[17:18], v27, v[40:41]
	v_mov_b32_e32 v19, v18
	v_mov_b32_e32 v18, v17
	s_and_saveexec_b64 s[76:77], s[16:17]
; %bb.1142:                             ;   in Loop: Header=BB4_738 Depth=2
	v_bfe_u32 v18, v17, 20, 1
	v_add_co_u32_e64 v18, s[16:17], v17, v18
	v_add_co_u32_e64 v18, s[16:17], -1, v18
; %bb.1143:                             ;   in Loop: Header=BB4_738 Depth=2
	s_or_b64 exec, exec, s[76:77]
	v_add_u32_e32 v19, 0xffffff81, v26
	v_cndmask_b32_e32 v19, v19, v54, vcc
	v_lshrrev_b32_e32 v23, 23, v17
	v_add3_u32 v24, v27, v19, v23
	v_add_u32_e32 v23, 6, v24
	v_and_b32_e32 v18, 0xfffff, v18
	v_add_u32_e32 v40, v18, v17
	v_cmp_ne_u32_e32 vcc, 0, v23
                                        ; implicit-def: $vgpr17_vgpr18
                                        ; implicit-def: $vgpr19
	s_and_saveexec_b64 s[16:17], vcc
	s_xor_b64 s[16:17], exec, s[16:17]
; %bb.1144:                             ;   in Loop: Header=BB4_738 Depth=2
	v_cmp_lt_u64_e32 vcc, s[58:59], v[40:41]
	v_add_u32_e32 v17, 7, v24
	v_cndmask_b32_e32 v19, v23, v17, vcc
	v_cndmask_b32_e64 v17, 0, 1, vcc
	v_lshrrev_b64 v[17:18], v17, v[40:41]
; %bb.1145:                             ;   in Loop: Header=BB4_738 Depth=2
	s_andn2_saveexec_b64 s[16:17], s[16:17]
; %bb.1146:                             ;   in Loop: Header=BB4_738 Depth=2
	v_mov_b32_e32 v17, v40
	v_bfe_u32 v19, v40, 23, 1
	v_mov_b32_e32 v18, v41
; %bb.1147:                             ;   in Loop: Header=BB4_738 Depth=2
	s_or_b64 exec, exec, s[16:17]
	v_lshrrev_b64 v[17:18], 20, v[17:18]
	v_cmp_gt_i32_e32 vcc, 16, v19
	v_cndmask_b32_e32 v18, 0, v18, vcc
	v_cndmask_b32_e32 v17, 7, v17, vcc
	v_cmp_eq_u64_e64 s[16:17], 0, v[17:18]
	v_min_i32_e32 v18, 15, v19
	v_lshlrev_b32_e32 v18, 3, v18
	v_cmp_eq_u32_e32 vcc, 0, v19
	v_and_b32_e32 v18, 0xf8, v18
	v_and_or_b32 v17, v17, 7, v18
	s_and_b64 s[16:17], vcc, s[16:17]
	v_cndmask_b32_e64 v17, v17, 0, s[16:17]
	v_or_b32_e32 v18, v17, v0
.LBB4_1148:                             ;   in Loop: Header=BB4_738 Depth=2
	s_or_b64 exec, exec, s[74:75]
                                        ; implicit-def: $vgpr0
.LBB4_1149:                             ;   in Loop: Header=BB4_738 Depth=2
	s_andn2_saveexec_b64 s[16:17], s[72:73]
; %bb.1150:                             ;   in Loop: Header=BB4_738 Depth=2
	v_or_b32_e32 v18, 0x7e, v0
; %bb.1151:                             ;   in Loop: Header=BB4_738 Depth=2
	s_or_b64 exec, exec, s[16:17]
                                        ; implicit-def: $vgpr17
.LBB4_1152:                             ;   in Loop: Header=BB4_738 Depth=2
	s_andn2_saveexec_b64 s[16:17], s[62:63]
; %bb.1153:                             ;   in Loop: Header=BB4_738 Depth=2
	v_or_b32_sdwa v18, v17, s37 dst_sel:DWORD dst_unused:UNUSED_PAD src0_sel:BYTE_3 src1_sel:DWORD
; %bb.1154:                             ;   in Loop: Header=BB4_738 Depth=2
	s_or_b64 exec, exec, s[16:17]
	v_lshlrev_b32_e32 v0, 16, v29
	v_lshlrev_b32_e32 v17, 24, v31
	v_lshl_or_b32 v0, v11, 8, v0
	v_lshlrev_b32_e32 v11, 16, v20
	v_or3_b32 v17, v0, v17, v9
	v_lshlrev_b32_e32 v0, 24, v18
	v_lshl_or_b32 v10, v10, 8, v11
	v_cmp_lt_u32_e32 vcc, 7, v48
	v_or3_b32 v18, v10, v0, v4
	s_cmp_lg_u64 vcc, exec
	s_mov_b64 s[16:17], -1
	s_cbranch_scc0 .LBB4_1164
; %bb.1155:                             ;   in Loop: Header=BB4_738 Depth=2
	v_cmp_ne_u32_e64 s[16:17], 1, v48
	flat_store_byte v[46:47], v9
	s_and_saveexec_b64 s[62:63], s[16:17]
	s_cbranch_execnz .LBB4_1166
; %bb.1156:                             ;   in Loop: Header=BB4_738 Depth=2
	s_or_b64 exec, exec, s[62:63]
	v_cmp_lt_u32_e64 s[16:17], 2, v48
	s_and_saveexec_b64 s[62:63], s[16:17]
	s_cbranch_execnz .LBB4_1167
.LBB4_1157:                             ;   in Loop: Header=BB4_738 Depth=2
	s_or_b64 exec, exec, s[62:63]
	v_cmp_lt_u32_e64 s[16:17], 3, v48
	s_and_saveexec_b64 s[62:63], s[16:17]
	s_cbranch_execnz .LBB4_1168
.LBB4_1158:                             ;   in Loop: Header=BB4_738 Depth=2
	s_or_b64 exec, exec, s[62:63]
	v_cmp_lt_u32_e64 s[16:17], 4, v48
	s_and_saveexec_b64 s[62:63], s[16:17]
	s_cbranch_execnz .LBB4_1169
.LBB4_1159:                             ;   in Loop: Header=BB4_738 Depth=2
	s_or_b64 exec, exec, s[62:63]
	v_cmp_lt_u32_e64 s[16:17], 5, v48
	s_and_saveexec_b64 s[62:63], s[16:17]
	s_cbranch_execnz .LBB4_1170
.LBB4_1160:                             ;   in Loop: Header=BB4_738 Depth=2
	s_or_b64 exec, exec, s[62:63]
	v_cmp_lt_u32_e64 s[16:17], 6, v48
	s_and_saveexec_b64 s[62:63], s[16:17]
	s_cbranch_execnz .LBB4_1171
.LBB4_1161:                             ;   in Loop: Header=BB4_738 Depth=2
	s_or_b64 exec, exec, s[62:63]
	s_and_saveexec_b64 s[16:17], vcc
	s_cbranch_execz .LBB4_1163
.LBB4_1162:                             ;   in Loop: Header=BB4_738 Depth=2
	v_lshrrev_b32_e32 v0, 24, v18
	flat_store_byte v[46:47], v0 offset:7
.LBB4_1163:                             ;   in Loop: Header=BB4_738 Depth=2
	s_or_b64 exec, exec, s[16:17]
	s_mov_b64 s[16:17], 0
.LBB4_1164:                             ;   in Loop: Header=BB4_738 Depth=2
	s_and_b64 vcc, exec, s[16:17]
	s_cbranch_vccz .LBB4_737
; %bb.1165:                             ;   in Loop: Header=BB4_738 Depth=2
	global_store_dwordx2 v[46:47], v[17:18], off
	s_branch .LBB4_737
.LBB4_1166:                             ;   in Loop: Header=BB4_738 Depth=2
	v_lshrrev_b32_e32 v0, 8, v17
	flat_store_byte v[46:47], v0 offset:1
	s_or_b64 exec, exec, s[62:63]
	v_cmp_lt_u32_e64 s[16:17], 2, v48
	s_and_saveexec_b64 s[62:63], s[16:17]
	s_cbranch_execz .LBB4_1157
.LBB4_1167:                             ;   in Loop: Header=BB4_738 Depth=2
	flat_store_byte_d16_hi v[46:47], v17 offset:2
	s_or_b64 exec, exec, s[62:63]
	v_cmp_lt_u32_e64 s[16:17], 3, v48
	s_and_saveexec_b64 s[62:63], s[16:17]
	s_cbranch_execz .LBB4_1158
.LBB4_1168:                             ;   in Loop: Header=BB4_738 Depth=2
	v_lshrrev_b32_e32 v0, 24, v17
	flat_store_byte v[46:47], v0 offset:3
	s_or_b64 exec, exec, s[62:63]
	v_cmp_lt_u32_e64 s[16:17], 4, v48
	s_and_saveexec_b64 s[62:63], s[16:17]
	s_cbranch_execz .LBB4_1159
.LBB4_1169:                             ;   in Loop: Header=BB4_738 Depth=2
	flat_store_byte v[46:47], v4 offset:4
	s_or_b64 exec, exec, s[62:63]
	v_cmp_lt_u32_e64 s[16:17], 5, v48
	s_and_saveexec_b64 s[62:63], s[16:17]
	s_cbranch_execz .LBB4_1160
.LBB4_1170:                             ;   in Loop: Header=BB4_738 Depth=2
	v_lshrrev_b32_e32 v0, 8, v18
	flat_store_byte v[46:47], v0 offset:5
	s_or_b64 exec, exec, s[62:63]
	v_cmp_lt_u32_e64 s[16:17], 6, v48
	s_and_saveexec_b64 s[62:63], s[16:17]
	s_cbranch_execz .LBB4_1161
.LBB4_1171:                             ;   in Loop: Header=BB4_738 Depth=2
	flat_store_byte_d16_hi v[46:47], v18 offset:6
	s_or_b64 exec, exec, s[62:63]
	s_and_saveexec_b64 s[16:17], vcc
	s_cbranch_execnz .LBB4_1162
	s_branch .LBB4_1163
.LBB4_1172:                             ;   in Loop: Header=BB4_30 Depth=1
	s_or_b64 exec, exec, s[60:61]
.LBB4_1173:                             ;   in Loop: Header=BB4_30 Depth=1
	s_or_b64 exec, exec, s[18:19]
	buffer_load_dword v17, off, s[0:3], s32 offset:148 ; 4-byte Folded Reload
	buffer_load_dword v18, off, s[0:3], s32 offset:152 ; 4-byte Folded Reload
	;; [unrolled: 1-line block ×8, first 2 shown]
	s_waitcnt vmcnt(0)
	v_mov_b32_e32 v27, v20
	v_mov_b32_e32 v26, v19
	s_and_saveexec_b64 s[16:17], s[10:11]
	s_cbranch_execz .LBB4_1192
; %bb.1174:                             ;   in Loop: Header=BB4_30 Depth=1
	s_and_saveexec_b64 s[18:19], s[40:41]
	s_xor_b64 s[18:19], exec, s[18:19]
	s_cbranch_execz .LBB4_1189
; %bb.1175:                             ;   in Loop: Header=BB4_30 Depth=1
	s_and_saveexec_b64 s[60:61], s[12:13]
	s_cbranch_execz .LBB4_1188
; %bb.1176:                             ;   in Loop: Header=BB4_30 Depth=1
	s_mov_b64 s[72:73], exec
	s_waitcnt lgkmcnt(0)
	v_mbcnt_lo_u32_b32 v0, s72, 0
	v_mbcnt_hi_u32_b32 v0, s73, v0
	v_cmp_eq_u32_e32 vcc, 0, v0
	buffer_wbinvl1_vol
	s_and_saveexec_b64 s[62:63], vcc
	s_cbranch_execz .LBB4_1178
; %bb.1177:                             ;   in Loop: Header=BB4_30 Depth=1
	s_bcnt1_i32_b64 s26, s[72:73]
	v_mov_b32_e32 v40, s26
	ds_add_u64 v0, v[40:41]
	s_trap 2
.LBB4_1178:                             ;   in Loop: Header=BB4_30 Depth=1
	s_or_b64 exec, exec, s[62:63]
	s_trap 2
	ds_read_b64 v[9:10], v0
	s_waitcnt lgkmcnt(0)
	buffer_load_dword v0, off, s[0:3], s32 offset:116 ; 4-byte Folded Reload
	s_waitcnt vmcnt(0)
	v_add_co_u32_e32 v2, vcc, v2, v0
	v_addc_co_u32_e32 v3, vcc, 0, v3, vcc
	v_cmp_lt_u64_e32 vcc, v[9:10], v[2:3]
	s_and_saveexec_b64 s[62:63], vcc
	s_cbranch_execz .LBB4_1187
; %bb.1179:                             ;   in Loop: Header=BB4_30 Depth=1
	s_mov_b32 s26, 0
	s_mov_b64 s[72:73], 0
                                        ; implicit-def: $sgpr74_sgpr75
                                        ; implicit-def: $sgpr76_sgpr77
	s_branch .LBB4_1181
.LBB4_1180:                             ;   in Loop: Header=BB4_1181 Depth=2
	s_or_b64 exec, exec, s[88:89]
	s_and_b64 s[78:79], exec, s[90:91]
	s_or_b64 s[72:73], s[78:79], s[72:73]
	s_andn2_b64 s[74:75], s[74:75], exec
	s_and_b64 s[78:79], s[76:77], exec
	s_or_b64 s[74:75], s[74:75], s[78:79]
	s_andn2_b64 exec, exec, s[72:73]
	s_cbranch_execz .LBB4_1185
.LBB4_1181:                             ;   Parent Loop BB4_30 Depth=1
                                        ; =>  This Inner Loop Header: Depth=2
	s_add_i32 s26, s26, 1
	s_cmpk_lg_i32 s26, 0x2710
	s_cselect_b64 s[78:79], -1, 0
	s_and_b64 vcc, exec, s[78:79]
	s_cbranch_vccz .LBB4_1183
; %bb.1182:                             ;   in Loop: Header=BB4_1181 Depth=2
	s_mov_b64 s[90:91], -1
	s_or_b64 s[76:77], s[76:77], exec
	s_and_saveexec_b64 s[88:89], s[78:79]
	s_cbranch_execz .LBB4_1180
	s_branch .LBB4_1184
.LBB4_1183:                             ;   in Loop: Header=BB4_1181 Depth=2
	s_trap 2
	ds_read_b64 v[9:10], v0
	s_andn2_b64 s[78:79], s[78:79], exec
	s_mov_b32 s26, 0
	s_waitcnt lgkmcnt(0)
	flat_load_dword v0, v[9:10] glc
	s_waitcnt vmcnt(0) lgkmcnt(0)
	buffer_wbinvl1_vol
	v_cmp_eq_u32_e32 vcc, 0, v0
	s_and_b64 s[88:89], vcc, exec
	s_or_b64 s[78:79], s[78:79], s[88:89]
	s_mov_b64 s[90:91], -1
	s_or_b64 s[76:77], s[76:77], exec
	s_and_saveexec_b64 s[88:89], s[78:79]
	s_cbranch_execz .LBB4_1180
.LBB4_1184:                             ;   in Loop: Header=BB4_1181 Depth=2
	s_sleep 1
	s_trap 2
	ds_read_b64 v[9:10], v0
	s_waitcnt lgkmcnt(0)
	s_andn2_b64 s[76:77], s[76:77], exec
	v_cmp_ge_u64_e32 vcc, v[9:10], v[2:3]
	s_orn2_b64 s[90:91], vcc, exec
	s_branch .LBB4_1180
.LBB4_1185:                             ;   in Loop: Header=BB4_30 Depth=1
	s_or_b64 exec, exec, s[72:73]
	s_and_saveexec_b64 s[72:73], s[74:75]
	s_xor_b64 s[72:73], exec, s[72:73]
	s_cbranch_execz .LBB4_1187
; %bb.1186:                             ;   in Loop: Header=BB4_30 Depth=1
	v_mov_b32_e32 v0, 1
	ds_write_b32 v0, v0
	s_trap 2
.LBB4_1187:                             ;   in Loop: Header=BB4_30 Depth=1
	s_or_b64 exec, exec, s[62:63]
	;;#ASMSTART
	s_wakeup
	;;#ASMEND
.LBB4_1188:                             ;   in Loop: Header=BB4_30 Depth=1
	s_or_b64 exec, exec, s[60:61]
.LBB4_1189:                             ;   in Loop: Header=BB4_30 Depth=1
	s_andn2_saveexec_b64 s[18:19], s[18:19]
	s_cbranch_execz .LBB4_1191
; %bb.1190:                             ;   in Loop: Header=BB4_30 Depth=1
	s_waitcnt lgkmcnt(0)
	buffer_wbinvl1_vol
	s_barrier
.LBB4_1191:                             ;   in Loop: Header=BB4_30 Depth=1
	s_or_b64 exec, exec, s[18:19]
.LBB4_1192:                             ;   in Loop: Header=BB4_30 Depth=1
	s_or_b64 exec, exec, s[16:17]
	s_and_saveexec_b64 s[16:17], s[14:15]
	s_cbranch_execz .LBB4_29
; %bb.1193:                             ;   in Loop: Header=BB4_30 Depth=1
	buffer_load_dword v9, off, s[0:3], s32 offset:88 ; 4-byte Folded Reload
	buffer_load_dword v10, off, s[0:3], s32 offset:92 ; 4-byte Folded Reload
	v_add_co_u32_e32 v38, vcc, 1, v38
	v_addc_co_u32_e32 v39, vcc, 0, v39, vcc
	s_waitcnt vmcnt(0)
	flat_store_dwordx2 v[9:10], v[38:39]
	s_branch .LBB4_29
.LBB4_1194:
	s_or_b64 exec, exec, s[28:29]
	buffer_load_dword v31, off, s[0:3], s32 offset:228 ; 4-byte Folded Reload
	buffer_load_dword v11, off, s[0:3], s32 offset:232 ; 4-byte Folded Reload
	;; [unrolled: 1-line block ×6, first 2 shown]
	s_or_b64 exec, exec, s[24:25]
	s_and_saveexec_b64 s[6:7], s[22:23]
	s_cbranch_execz .LBB4_26
.LBB4_1195:
	s_waitcnt vmcnt(0) lgkmcnt(0)
	flat_store_dwordx2 v[28:29], v[38:39] offset:104
	s_or_b64 exec, exec, s[6:7]
	s_and_saveexec_b64 s[6:7], s[4:5]
	s_cbranch_execz .LBB4_27
.LBB4_1196:
	s_waitcnt vmcnt(0) lgkmcnt(0)
	flat_store_dwordx2 v[8:9], v[15:16] offset:104
	s_or_b64 exec, exec, s[6:7]
	v_cmp_ne_u32_e32 vcc, 64, v1
	s_and_saveexec_b64 s[4:5], vcc
	s_cbranch_execz .LBB4_1214
.LBB4_1197:
	s_waitcnt vmcnt(0)
	v_cmp_ne_u32_sdwa s[6:7], v1, v11 src0_sel:DWORD src1_sel:WORD_0
	s_and_saveexec_b64 s[8:9], s[6:7]
	s_xor_b64 s[6:7], exec, s[8:9]
	s_cbranch_execz .LBB4_1212
; %bb.1198:
	s_waitcnt lgkmcnt(0)
	v_and_b32_e32 v0, 63, v31
	v_cmp_eq_u32_e32 vcc, 0, v0
	s_and_saveexec_b64 s[8:9], vcc
	s_cbranch_execz .LBB4_1211
; %bb.1199:
	s_mov_b64 s[12:13], exec
	v_mbcnt_lo_u32_b32 v0, s12, 0
	v_mbcnt_hi_u32_b32 v0, s13, v0
	v_cmp_eq_u32_e32 vcc, 0, v0
	buffer_wbinvl1_vol
	s_and_saveexec_b64 s[10:11], vcc
	s_cbranch_execz .LBB4_1201
; %bb.1200:
	s_bcnt1_i32_b64 s12, s[12:13]
	v_mov_b32_e32 v4, s12
	v_mov_b32_e32 v5, 0
	ds_add_u64 v0, v[4:5]
	s_trap 2
.LBB4_1201:
	s_or_b64 exec, exec, s[10:11]
	v_lshrrev_b32_e32 v0, 6, v1
	s_trap 2
	ds_read_b64 v[4:5], v0
	s_waitcnt lgkmcnt(0)
	v_add_co_u32_e32 v0, vcc, v2, v0
	v_addc_co_u32_e32 v1, vcc, 0, v3, vcc
	v_cmp_lt_u64_e32 vcc, v[4:5], v[0:1]
	s_and_saveexec_b64 s[10:11], vcc
	s_cbranch_execz .LBB4_1210
; %bb.1202:
	s_mov_b32 s24, 0
	s_mov_b64 s[12:13], 0
                                        ; implicit-def: $sgpr14_sgpr15
                                        ; implicit-def: $sgpr16_sgpr17
	s_branch .LBB4_1204
.LBB4_1203:                             ;   in Loop: Header=BB4_1204 Depth=1
	s_or_b64 exec, exec, s[20:21]
	s_and_b64 s[18:19], exec, s[22:23]
	s_or_b64 s[12:13], s[18:19], s[12:13]
	s_andn2_b64 s[14:15], s[14:15], exec
	s_and_b64 s[18:19], s[16:17], exec
	s_or_b64 s[14:15], s[14:15], s[18:19]
	s_andn2_b64 exec, exec, s[12:13]
	s_cbranch_execz .LBB4_1208
.LBB4_1204:                             ; =>This Inner Loop Header: Depth=1
	s_add_i32 s24, s24, 1
	s_cmpk_lg_i32 s24, 0x2710
	s_cselect_b64 s[18:19], -1, 0
	s_and_b64 vcc, exec, s[18:19]
	s_cbranch_vccz .LBB4_1206
; %bb.1205:                             ;   in Loop: Header=BB4_1204 Depth=1
	s_mov_b64 s[22:23], -1
	s_or_b64 s[16:17], s[16:17], exec
	s_and_saveexec_b64 s[20:21], s[18:19]
	s_cbranch_execz .LBB4_1203
	s_branch .LBB4_1207
.LBB4_1206:                             ;   in Loop: Header=BB4_1204 Depth=1
	s_trap 2
	ds_read_b64 v[2:3], v0
	s_andn2_b64 s[18:19], s[18:19], exec
	s_mov_b32 s24, 0
	s_waitcnt lgkmcnt(0)
	flat_load_dword v2, v[2:3] glc
	s_waitcnt vmcnt(0) lgkmcnt(0)
	buffer_wbinvl1_vol
	v_cmp_eq_u32_e32 vcc, 0, v2
	s_and_b64 s[20:21], vcc, exec
	s_or_b64 s[18:19], s[18:19], s[20:21]
	s_mov_b64 s[22:23], -1
	s_or_b64 s[16:17], s[16:17], exec
	s_and_saveexec_b64 s[20:21], s[18:19]
	s_cbranch_execz .LBB4_1203
.LBB4_1207:                             ;   in Loop: Header=BB4_1204 Depth=1
	s_sleep 1
	s_trap 2
	ds_read_b64 v[2:3], v0
	s_waitcnt lgkmcnt(0)
	s_andn2_b64 s[16:17], s[16:17], exec
	v_cmp_ge_u64_e32 vcc, v[2:3], v[0:1]
	s_orn2_b64 s[22:23], vcc, exec
	s_branch .LBB4_1203
.LBB4_1208:
	s_or_b64 exec, exec, s[12:13]
	s_and_saveexec_b64 s[12:13], s[14:15]
	s_xor_b64 s[12:13], exec, s[12:13]
	s_cbranch_execz .LBB4_1210
; %bb.1209:
	v_mov_b32_e32 v0, 1
	ds_write_b32 v0, v0
	s_trap 2
.LBB4_1210:
	s_or_b64 exec, exec, s[10:11]
	;;#ASMSTART
	s_wakeup
	;;#ASMEND
.LBB4_1211:
	s_or_b64 exec, exec, s[8:9]
.LBB4_1212:
	s_andn2_saveexec_b64 s[6:7], s[6:7]
	s_cbranch_execz .LBB4_1214
; %bb.1213:
	s_waitcnt lgkmcnt(0)
	buffer_wbinvl1_vol
	s_barrier
.LBB4_1214:
	s_or_b64 exec, exec, s[4:5]
	buffer_load_dword v62, off, s[0:3], s32 ; 4-byte Folded Reload
	buffer_load_dword v61, off, s[0:3], s32 offset:4 ; 4-byte Folded Reload
	buffer_load_dword v60, off, s[0:3], s32 offset:8 ; 4-byte Folded Reload
	;; [unrolled: 1-line block ×14, first 2 shown]
	v_readlane_b32 s30, v63, 7
	v_readlane_b32 s31, v63, 8
	;; [unrolled: 1-line block ×9, first 2 shown]
	s_or_saveexec_b64 s[4:5], -1
	buffer_load_dword v63, off, s[0:3], s32 offset:252 ; 4-byte Folded Reload
	s_mov_b64 exec, s[4:5]
	s_waitcnt vmcnt(0) lgkmcnt(0)
	s_setpc_b64 s[30:31]
.Lfunc_end4:
	.size	_ZN12_GLOBAL__N_17runRingI14__hip_fp8_e4m313FuncPreMulSumIS1_E7ProtoLLLi0ELi4ELi0EEEviiP15ncclDevWorkColl, .Lfunc_end4-_ZN12_GLOBAL__N_17runRingI14__hip_fp8_e4m313FuncPreMulSumIS1_E7ProtoLLLi0ELi4ELi0EEEviiP15ncclDevWorkColl
                                        ; -- End function
	.set .L_ZN12_GLOBAL__N_17runRingI14__hip_fp8_e4m313FuncPreMulSumIS1_E7ProtoLLLi0ELi4ELi0EEEviiP15ncclDevWorkColl.num_vgpr, 64
	.set .L_ZN12_GLOBAL__N_17runRingI14__hip_fp8_e4m313FuncPreMulSumIS1_E7ProtoLLLi0ELi4ELi0EEEviiP15ncclDevWorkColl.num_agpr, 0
	.set .L_ZN12_GLOBAL__N_17runRingI14__hip_fp8_e4m313FuncPreMulSumIS1_E7ProtoLLLi0ELi4ELi0EEEviiP15ncclDevWorkColl.numbered_sgpr, 96
	.set .L_ZN12_GLOBAL__N_17runRingI14__hip_fp8_e4m313FuncPreMulSumIS1_E7ProtoLLLi0ELi4ELi0EEEviiP15ncclDevWorkColl.num_named_barrier, 0
	.set .L_ZN12_GLOBAL__N_17runRingI14__hip_fp8_e4m313FuncPreMulSumIS1_E7ProtoLLLi0ELi4ELi0EEEviiP15ncclDevWorkColl.private_seg_size, 260
	.set .L_ZN12_GLOBAL__N_17runRingI14__hip_fp8_e4m313FuncPreMulSumIS1_E7ProtoLLLi0ELi4ELi0EEEviiP15ncclDevWorkColl.uses_vcc, 1
	.set .L_ZN12_GLOBAL__N_17runRingI14__hip_fp8_e4m313FuncPreMulSumIS1_E7ProtoLLLi0ELi4ELi0EEEviiP15ncclDevWorkColl.uses_flat_scratch, 0
	.set .L_ZN12_GLOBAL__N_17runRingI14__hip_fp8_e4m313FuncPreMulSumIS1_E7ProtoLLLi0ELi4ELi0EEEviiP15ncclDevWorkColl.has_dyn_sized_stack, 0
	.set .L_ZN12_GLOBAL__N_17runRingI14__hip_fp8_e4m313FuncPreMulSumIS1_E7ProtoLLLi0ELi4ELi0EEEviiP15ncclDevWorkColl.has_recursion, 0
	.set .L_ZN12_GLOBAL__N_17runRingI14__hip_fp8_e4m313FuncPreMulSumIS1_E7ProtoLLLi0ELi4ELi0EEEviiP15ncclDevWorkColl.has_indirect_call, 0
	.section	.AMDGPU.csdata,"",@progbits
; Function info:
; codeLenInByte = 36048
; TotalNumSgprs: 100
; NumVgprs: 64
; ScratchSize: 260
; MemoryBound: 0
	.text
	.p2align	2                               ; -- Begin function _Z56ncclDevFunc_ReduceScatter_RING_LL_PreMulSum_f8e4m3_0_0_4v
	.type	_Z56ncclDevFunc_ReduceScatter_RING_LL_PreMulSum_f8e4m3_0_0_4v,@function
_Z56ncclDevFunc_ReduceScatter_RING_LL_PreMulSum_f8e4m3_0_0_4v: ; @_Z56ncclDevFunc_ReduceScatter_RING_LL_PreMulSum_f8e4m3_0_0_4v
; %bb.0:
	s_waitcnt vmcnt(0) expcnt(0) lgkmcnt(0)
	s_mov_b32 s4, s33
	s_mov_b32 s33, s32
	s_or_saveexec_b64 s[6:7], -1
	buffer_store_dword v43, off, s[0:3], s33 offset:16 ; 4-byte Folded Spill
	s_mov_b64 exec, s[6:7]
	v_writelane_b32 v43, s4, 15
	s_addk_i32 s32, 0x800
	buffer_store_dword v40, off, s[0:3], s33 offset:12 ; 4-byte Folded Spill
	buffer_store_dword v41, off, s[0:3], s33 offset:8 ; 4-byte Folded Spill
	;; [unrolled: 1-line block ×3, first 2 shown]
	buffer_store_dword v63, off, s[0:3], s33 ; 4-byte Folded Spill
	v_writelane_b32 v43, s34, 0
	v_writelane_b32 v43, s35, 1
	v_writelane_b32 v43, s36, 2
	v_writelane_b32 v43, s37, 3
	v_writelane_b32 v43, s38, 4
	v_writelane_b32 v43, s39, 5
	v_writelane_b32 v43, s48, 6
	v_writelane_b32 v43, s49, 7
	v_writelane_b32 v43, s50, 8
	v_writelane_b32 v43, s51, 9
	v_writelane_b32 v43, s52, 10
	v_writelane_b32 v43, s53, 11
	v_writelane_b32 v43, s54, 12
	v_writelane_b32 v43, s30, 13
	v_writelane_b32 v43, s31, 14
	s_trap 2
	ds_read_b32 v0, v0
	v_mov_b32_e32 v40, v31
	v_and_b32_e32 v41, 0x3ff, v40
	s_mov_b32 s49, s12
	s_mov_b64 s[50:51], s[8:9]
	s_waitcnt lgkmcnt(0)
	v_cmp_lt_i32_e32 vcc, v41, v0
	s_and_saveexec_b64 s[4:5], vcc
	s_cbranch_execz .LBB5_5
; %bb.1:
	s_load_dword s6, s[50:51], 0x0
	v_mov_b32_e32 v1, 0
	s_mov_b32 s10, 0
	v_mov_b32_e32 v4, v41
                                        ; implicit-def: $vgpr3
	s_waitcnt lgkmcnt(0)
	s_cmp_lt_u32 s49, s6
	s_cselect_b32 s6, 12, 18
	s_add_u32 s6, s50, s6
	s_addc_u32 s7, s51, 0
	global_load_ushort v1, v1, s[6:7]
	s_trap 2
	ds_read_b32 v2, v0
	s_mov_b64 s[6:7], 0
	s_waitcnt vmcnt(0) lgkmcnt(0)
	v_mul_lo_u32 v2, v2, v1
	s_branch .LBB5_3
.LBB5_2:                                ;   in Loop: Header=BB5_3 Depth=1
	s_or_b64 exec, exec, s[8:9]
	v_add_u32_e32 v4, v4, v1
	v_cmp_ge_i32_e32 vcc, v4, v0
	s_or_b64 s[6:7], vcc, s[6:7]
	v_add_u32_e32 v3, v3, v2
	s_andn2_b64 exec, exec, s[6:7]
	s_cbranch_execz .LBB5_5
.LBB5_3:                                ; =>This Inner Loop Header: Depth=1
	ds_read_b32 v5, v3
	s_waitcnt lgkmcnt(0)
	v_and_b32_e32 v5, 0x1000000, v5
	v_cmp_ne_u32_e32 vcc, 0, v5
	s_and_saveexec_b64 s[8:9], vcc
	s_cbranch_execz .LBB5_2
; %bb.4:                                ;   in Loop: Header=BB5_3 Depth=1
	ds_read_b64 v[5:6], v3 offset:104
	s_waitcnt lgkmcnt(0)
	flat_load_ubyte v5, v[5:6]
	v_mov_b32_e32 v6, s10
	s_waitcnt vmcnt(0) lgkmcnt(0)
	v_and_b32_e32 v5, 0xffff, v5
	ds_write_b64 v3, v[5:6] offset:104
	s_branch .LBB5_2
.LBB5_5:
	s_or_b64 exec, exec, s[4:5]
	s_waitcnt vmcnt(0) lgkmcnt(0)
	s_barrier
	s_trap 2
	ds_read_b32 v0, v0
	s_waitcnt lgkmcnt(0)
	v_cmp_gt_i32_e32 vcc, 1, v0
	s_cbranch_vccnz .LBB5_13
; %bb.6:
	s_mov_b32 s54, 0
	v_mov_b32_e32 v42, 6
	s_branch .LBB5_8
.LBB5_7:                                ;   in Loop: Header=BB5_8 Depth=1
	s_or_b64 exec, exec, s[52:53]
	s_trap 2
	ds_read_b32 v0, v0
	s_add_i32 s54, s54, 1
	s_waitcnt lgkmcnt(0)
	v_cmp_lt_i32_e32 vcc, s54, v0
	s_cbranch_vccz .LBB5_13
.LBB5_8:                                ; =>This Inner Loop Header: Depth=1
	s_trap 2
	ds_read_b32 v0, v0
	s_cmp_eq_u32 s54, 0
	s_cbranch_scc1 .LBB5_11
; %bb.9:                                ;   in Loop: Header=BB5_8 Depth=1
	s_trap 2
	s_waitcnt lgkmcnt(0)
	ds_read_b32 v1, v0
	s_waitcnt lgkmcnt(0)
	v_xor_b32_e32 v1, v1, v0
	v_and_b32_e32 v1, 0xff0000, v1
	v_cmp_eq_u32_e32 vcc, 0, v1
	s_cbranch_vccnz .LBB5_11
; %bb.10:                               ;   in Loop: Header=BB5_8 Depth=1
	s_barrier
	ds_read_b32 v0, v0
.LBB5_11:                               ;   in Loop: Header=BB5_8 Depth=1
	s_waitcnt lgkmcnt(0)
	v_lshlrev_b32_sdwa v1, v42, v0 dst_sel:DWORD dst_unused:UNUSED_PAD src0_sel:DWORD src1_sel:BYTE_2
	v_cmp_lt_u32_e32 vcc, v41, v1
	s_and_saveexec_b64 s[52:53], vcc
	s_cbranch_execz .LBB5_7
; %bb.12:                               ;   in Loop: Header=BB5_8 Depth=1
	s_mov_b64 s[4:5], src_shared_base
	s_getpc_b64 s[6:7]
	s_add_u32 s6, s6, _ZN12_GLOBAL__N_17runRingI14__hip_fp8_e4m313FuncPreMulSumIS1_E7ProtoLLLi0ELi4ELi0EEEviiP15ncclDevWorkColl@rel32@lo+4
	s_addc_u32 s7, s7, _ZN12_GLOBAL__N_17runRingI14__hip_fp8_e4m313FuncPreMulSumIS1_E7ProtoLLLi0ELi4ELi0EEEviiP15ncclDevWorkColl@rel32@hi+12
	s_mov_b64 s[8:9], s[50:51]
	s_mov_b32 s12, s49
	v_mov_b32_e32 v31, v40
	v_mov_b32_e32 v0, v41
	;; [unrolled: 1-line block ×3, first 2 shown]
	s_swappc_b64 s[30:31], s[6:7]
	s_branch .LBB5_7
.LBB5_13:
	buffer_load_dword v63, off, s[0:3], s33 ; 4-byte Folded Reload
	buffer_load_dword v42, off, s[0:3], s33 offset:4 ; 4-byte Folded Reload
	buffer_load_dword v41, off, s[0:3], s33 offset:8 ; 4-byte Folded Reload
	;; [unrolled: 1-line block ×3, first 2 shown]
	v_readlane_b32 s30, v43, 13
	v_readlane_b32 s31, v43, 14
	;; [unrolled: 1-line block ×15, first 2 shown]
	s_mov_b32 s32, s33
	v_readlane_b32 s4, v43, 15
	s_or_saveexec_b64 s[6:7], -1
	buffer_load_dword v43, off, s[0:3], s33 offset:16 ; 4-byte Folded Reload
	s_mov_b64 exec, s[6:7]
	s_mov_b32 s33, s4
	s_waitcnt vmcnt(0)
	s_setpc_b64 s[30:31]
.Lfunc_end5:
	.size	_Z56ncclDevFunc_ReduceScatter_RING_LL_PreMulSum_f8e4m3_0_0_4v, .Lfunc_end5-_Z56ncclDevFunc_ReduceScatter_RING_LL_PreMulSum_f8e4m3_0_0_4v
                                        ; -- End function
	.set .L_Z56ncclDevFunc_ReduceScatter_RING_LL_PreMulSum_f8e4m3_0_0_4v.num_vgpr, max(64, .L_ZN12_GLOBAL__N_17runRingI14__hip_fp8_e4m313FuncPreMulSumIS1_E7ProtoLLLi0ELi4ELi0EEEviiP15ncclDevWorkColl.num_vgpr)
	.set .L_Z56ncclDevFunc_ReduceScatter_RING_LL_PreMulSum_f8e4m3_0_0_4v.num_agpr, max(0, .L_ZN12_GLOBAL__N_17runRingI14__hip_fp8_e4m313FuncPreMulSumIS1_E7ProtoLLLi0ELi4ELi0EEEviiP15ncclDevWorkColl.num_agpr)
	.set .L_Z56ncclDevFunc_ReduceScatter_RING_LL_PreMulSum_f8e4m3_0_0_4v.numbered_sgpr, max(55, .L_ZN12_GLOBAL__N_17runRingI14__hip_fp8_e4m313FuncPreMulSumIS1_E7ProtoLLLi0ELi4ELi0EEEviiP15ncclDevWorkColl.numbered_sgpr)
	.set .L_Z56ncclDevFunc_ReduceScatter_RING_LL_PreMulSum_f8e4m3_0_0_4v.num_named_barrier, max(0, .L_ZN12_GLOBAL__N_17runRingI14__hip_fp8_e4m313FuncPreMulSumIS1_E7ProtoLLLi0ELi4ELi0EEEviiP15ncclDevWorkColl.num_named_barrier)
	.set .L_Z56ncclDevFunc_ReduceScatter_RING_LL_PreMulSum_f8e4m3_0_0_4v.private_seg_size, 32+max(.L_ZN12_GLOBAL__N_17runRingI14__hip_fp8_e4m313FuncPreMulSumIS1_E7ProtoLLLi0ELi4ELi0EEEviiP15ncclDevWorkColl.private_seg_size)
	.set .L_Z56ncclDevFunc_ReduceScatter_RING_LL_PreMulSum_f8e4m3_0_0_4v.uses_vcc, or(1, .L_ZN12_GLOBAL__N_17runRingI14__hip_fp8_e4m313FuncPreMulSumIS1_E7ProtoLLLi0ELi4ELi0EEEviiP15ncclDevWorkColl.uses_vcc)
	.set .L_Z56ncclDevFunc_ReduceScatter_RING_LL_PreMulSum_f8e4m3_0_0_4v.uses_flat_scratch, or(0, .L_ZN12_GLOBAL__N_17runRingI14__hip_fp8_e4m313FuncPreMulSumIS1_E7ProtoLLLi0ELi4ELi0EEEviiP15ncclDevWorkColl.uses_flat_scratch)
	.set .L_Z56ncclDevFunc_ReduceScatter_RING_LL_PreMulSum_f8e4m3_0_0_4v.has_dyn_sized_stack, or(0, .L_ZN12_GLOBAL__N_17runRingI14__hip_fp8_e4m313FuncPreMulSumIS1_E7ProtoLLLi0ELi4ELi0EEEviiP15ncclDevWorkColl.has_dyn_sized_stack)
	.set .L_Z56ncclDevFunc_ReduceScatter_RING_LL_PreMulSum_f8e4m3_0_0_4v.has_recursion, or(1, .L_ZN12_GLOBAL__N_17runRingI14__hip_fp8_e4m313FuncPreMulSumIS1_E7ProtoLLLi0ELi4ELi0EEEviiP15ncclDevWorkColl.has_recursion)
	.set .L_Z56ncclDevFunc_ReduceScatter_RING_LL_PreMulSum_f8e4m3_0_0_4v.has_indirect_call, or(0, .L_ZN12_GLOBAL__N_17runRingI14__hip_fp8_e4m313FuncPreMulSumIS1_E7ProtoLLLi0ELi4ELi0EEEviiP15ncclDevWorkColl.has_indirect_call)
	.section	.AMDGPU.csdata,"",@progbits
; Function info:
; codeLenInByte = 848
; TotalNumSgprs: 100
; NumVgprs: 64
; ScratchSize: 292
; MemoryBound: 0
	.section	.AMDGPU.gpr_maximums,"",@progbits
	.set amdgpu.max_num_vgpr, 64
	.set amdgpu.max_num_agpr, 0
	.set amdgpu.max_num_sgpr, 96
	.section	.AMDGPU.csdata,"",@progbits
	.type	__hip_cuid_9a2ba43f8a387ce9,@object ; @__hip_cuid_9a2ba43f8a387ce9
	.section	.bss,"aw",@nobits
	.globl	__hip_cuid_9a2ba43f8a387ce9
__hip_cuid_9a2ba43f8a387ce9:
	.byte	0                               ; 0x0
	.size	__hip_cuid_9a2ba43f8a387ce9, 1

	.ident	"AMD clang version 22.0.0git (https://github.com/RadeonOpenCompute/llvm-project roc-7.2.4 26084 f58b06dce1f9c15707c5f808fd002e18c2accf7e)"
	.section	".note.GNU-stack","",@progbits
	.addrsig
	.addrsig_sym _Z56ncclDevFunc_ReduceScatter_RING_LL_PreMulSum_f8e4m3_0_0_1v
	.addrsig_sym _Z56ncclDevFunc_ReduceScatter_RING_LL_PreMulSum_f8e4m3_0_0_2v
	.addrsig_sym _Z56ncclDevFunc_ReduceScatter_RING_LL_PreMulSum_f8e4m3_0_0_4v
	.addrsig_sym ncclShmem
	.addrsig_sym __hip_cuid_9a2ba43f8a387ce9
	.amdgpu_metadata
---
amdhsa.kernels:  []
amdhsa.target:   amdgcn-amd-amdhsa--gfx906
amdhsa.version:
  - 1
  - 2
...

	.end_amdgpu_metadata
